;; amdgpu-corpus repo=ROCm/rocFFT kind=compiled arch=gfx1100 opt=O3
	.text
	.amdgcn_target "amdgcn-amd-amdhsa--gfx1100"
	.amdhsa_code_object_version 6
	.protected	fft_rtc_back_len1430_factors_13_11_10_wgs_143_tpt_143_sp_op_CI_CI_unitstride_sbrr_dirReg ; -- Begin function fft_rtc_back_len1430_factors_13_11_10_wgs_143_tpt_143_sp_op_CI_CI_unitstride_sbrr_dirReg
	.globl	fft_rtc_back_len1430_factors_13_11_10_wgs_143_tpt_143_sp_op_CI_CI_unitstride_sbrr_dirReg
	.p2align	8
	.type	fft_rtc_back_len1430_factors_13_11_10_wgs_143_tpt_143_sp_op_CI_CI_unitstride_sbrr_dirReg,@function
fft_rtc_back_len1430_factors_13_11_10_wgs_143_tpt_143_sp_op_CI_CI_unitstride_sbrr_dirReg: ; @fft_rtc_back_len1430_factors_13_11_10_wgs_143_tpt_143_sp_op_CI_CI_unitstride_sbrr_dirReg
; %bb.0:
	s_clause 0x2
	s_load_b128 s[8:11], s[0:1], 0x0
	s_load_b128 s[4:7], s[0:1], 0x58
	;; [unrolled: 1-line block ×3, first 2 shown]
	v_mul_u32_u24_e32 v1, 0x1cb, v0
	v_mov_b32_e32 v16, 0
	v_mov_b32_e32 v17, 0
	s_delay_alu instid0(VALU_DEP_3) | instskip(SKIP_1) | instid1(VALU_DEP_1)
	v_lshrrev_b32_e32 v2, 16, v1
	v_mov_b32_e32 v1, 0
	v_dual_mov_b32 v4, v1 :: v_dual_add_nc_u32 v3, s15, v2
	s_waitcnt lgkmcnt(0)
	v_cmp_lt_u64_e64 s2, s[10:11], 2
	s_delay_alu instid0(VALU_DEP_1)
	s_and_b32 vcc_lo, exec_lo, s2
	s_cbranch_vccnz .LBB0_8
; %bb.1:
	s_load_b64 s[2:3], s[0:1], 0x10
	v_mov_b32_e32 v16, 0
	v_mov_b32_e32 v17, 0
	s_add_u32 s12, s18, 8
	s_addc_u32 s13, s19, 0
	s_add_u32 s14, s16, 8
	s_addc_u32 s15, s17, 0
	v_dual_mov_b32 v21, v17 :: v_dual_mov_b32 v20, v16
	s_mov_b64 s[22:23], 1
	s_waitcnt lgkmcnt(0)
	s_add_u32 s20, s2, 8
	s_addc_u32 s21, s3, 0
.LBB0_2:                                ; =>This Inner Loop Header: Depth=1
	s_load_b64 s[24:25], s[20:21], 0x0
                                        ; implicit-def: $vgpr22_vgpr23
	s_mov_b32 s2, exec_lo
	s_waitcnt lgkmcnt(0)
	v_or_b32_e32 v2, s25, v4
	s_delay_alu instid0(VALU_DEP_1)
	v_cmpx_ne_u64_e32 0, v[1:2]
	s_xor_b32 s3, exec_lo, s2
	s_cbranch_execz .LBB0_4
; %bb.3:                                ;   in Loop: Header=BB0_2 Depth=1
	v_cvt_f32_u32_e32 v2, s24
	v_cvt_f32_u32_e32 v5, s25
	s_sub_u32 s2, 0, s24
	s_subb_u32 s26, 0, s25
	s_delay_alu instid0(VALU_DEP_1) | instskip(NEXT) | instid1(VALU_DEP_1)
	v_fmac_f32_e32 v2, 0x4f800000, v5
	v_rcp_f32_e32 v2, v2
	s_waitcnt_depctr 0xfff
	v_mul_f32_e32 v2, 0x5f7ffffc, v2
	s_delay_alu instid0(VALU_DEP_1) | instskip(NEXT) | instid1(VALU_DEP_1)
	v_mul_f32_e32 v5, 0x2f800000, v2
	v_trunc_f32_e32 v5, v5
	s_delay_alu instid0(VALU_DEP_1) | instskip(SKIP_1) | instid1(VALU_DEP_2)
	v_fmac_f32_e32 v2, 0xcf800000, v5
	v_cvt_u32_f32_e32 v5, v5
	v_cvt_u32_f32_e32 v2, v2
	s_delay_alu instid0(VALU_DEP_2) | instskip(NEXT) | instid1(VALU_DEP_2)
	v_mul_lo_u32 v6, s2, v5
	v_mul_hi_u32 v7, s2, v2
	v_mul_lo_u32 v8, s26, v2
	s_delay_alu instid0(VALU_DEP_2) | instskip(SKIP_1) | instid1(VALU_DEP_2)
	v_add_nc_u32_e32 v6, v7, v6
	v_mul_lo_u32 v7, s2, v2
	v_add_nc_u32_e32 v6, v6, v8
	s_delay_alu instid0(VALU_DEP_2) | instskip(NEXT) | instid1(VALU_DEP_2)
	v_mul_hi_u32 v8, v2, v7
	v_mul_lo_u32 v9, v2, v6
	v_mul_hi_u32 v10, v2, v6
	v_mul_hi_u32 v11, v5, v7
	v_mul_lo_u32 v7, v5, v7
	v_mul_hi_u32 v12, v5, v6
	v_mul_lo_u32 v6, v5, v6
	v_add_co_u32 v8, vcc_lo, v8, v9
	v_add_co_ci_u32_e32 v9, vcc_lo, 0, v10, vcc_lo
	s_delay_alu instid0(VALU_DEP_2) | instskip(NEXT) | instid1(VALU_DEP_2)
	v_add_co_u32 v7, vcc_lo, v8, v7
	v_add_co_ci_u32_e32 v7, vcc_lo, v9, v11, vcc_lo
	v_add_co_ci_u32_e32 v8, vcc_lo, 0, v12, vcc_lo
	s_delay_alu instid0(VALU_DEP_2) | instskip(NEXT) | instid1(VALU_DEP_2)
	v_add_co_u32 v6, vcc_lo, v7, v6
	v_add_co_ci_u32_e32 v7, vcc_lo, 0, v8, vcc_lo
	s_delay_alu instid0(VALU_DEP_2) | instskip(NEXT) | instid1(VALU_DEP_2)
	v_add_co_u32 v2, vcc_lo, v2, v6
	v_add_co_ci_u32_e32 v5, vcc_lo, v5, v7, vcc_lo
	s_delay_alu instid0(VALU_DEP_2) | instskip(SKIP_1) | instid1(VALU_DEP_3)
	v_mul_hi_u32 v6, s2, v2
	v_mul_lo_u32 v8, s26, v2
	v_mul_lo_u32 v7, s2, v5
	s_delay_alu instid0(VALU_DEP_1) | instskip(SKIP_1) | instid1(VALU_DEP_2)
	v_add_nc_u32_e32 v6, v6, v7
	v_mul_lo_u32 v7, s2, v2
	v_add_nc_u32_e32 v6, v6, v8
	s_delay_alu instid0(VALU_DEP_2) | instskip(NEXT) | instid1(VALU_DEP_2)
	v_mul_hi_u32 v8, v2, v7
	v_mul_lo_u32 v9, v2, v6
	v_mul_hi_u32 v10, v2, v6
	v_mul_hi_u32 v11, v5, v7
	v_mul_lo_u32 v7, v5, v7
	v_mul_hi_u32 v12, v5, v6
	v_mul_lo_u32 v6, v5, v6
	v_add_co_u32 v8, vcc_lo, v8, v9
	v_add_co_ci_u32_e32 v9, vcc_lo, 0, v10, vcc_lo
	s_delay_alu instid0(VALU_DEP_2) | instskip(NEXT) | instid1(VALU_DEP_2)
	v_add_co_u32 v7, vcc_lo, v8, v7
	v_add_co_ci_u32_e32 v7, vcc_lo, v9, v11, vcc_lo
	v_add_co_ci_u32_e32 v8, vcc_lo, 0, v12, vcc_lo
	s_delay_alu instid0(VALU_DEP_2) | instskip(NEXT) | instid1(VALU_DEP_2)
	v_add_co_u32 v6, vcc_lo, v7, v6
	v_add_co_ci_u32_e32 v7, vcc_lo, 0, v8, vcc_lo
	s_delay_alu instid0(VALU_DEP_2) | instskip(NEXT) | instid1(VALU_DEP_2)
	v_add_co_u32 v2, vcc_lo, v2, v6
	v_add_co_ci_u32_e32 v11, vcc_lo, v5, v7, vcc_lo
	s_delay_alu instid0(VALU_DEP_2) | instskip(SKIP_1) | instid1(VALU_DEP_3)
	v_mul_hi_u32 v12, v3, v2
	v_mad_u64_u32 v[7:8], null, v4, v2, 0
	v_mad_u64_u32 v[5:6], null, v3, v11, 0
	;; [unrolled: 1-line block ×3, first 2 shown]
	s_delay_alu instid0(VALU_DEP_2) | instskip(NEXT) | instid1(VALU_DEP_3)
	v_add_co_u32 v2, vcc_lo, v12, v5
	v_add_co_ci_u32_e32 v5, vcc_lo, 0, v6, vcc_lo
	s_delay_alu instid0(VALU_DEP_2) | instskip(NEXT) | instid1(VALU_DEP_2)
	v_add_co_u32 v2, vcc_lo, v2, v7
	v_add_co_ci_u32_e32 v2, vcc_lo, v5, v8, vcc_lo
	v_add_co_ci_u32_e32 v5, vcc_lo, 0, v10, vcc_lo
	s_delay_alu instid0(VALU_DEP_2) | instskip(NEXT) | instid1(VALU_DEP_2)
	v_add_co_u32 v2, vcc_lo, v2, v9
	v_add_co_ci_u32_e32 v7, vcc_lo, 0, v5, vcc_lo
	s_delay_alu instid0(VALU_DEP_2) | instskip(SKIP_1) | instid1(VALU_DEP_3)
	v_mul_lo_u32 v8, s25, v2
	v_mad_u64_u32 v[5:6], null, s24, v2, 0
	v_mul_lo_u32 v9, s24, v7
	s_delay_alu instid0(VALU_DEP_2) | instskip(NEXT) | instid1(VALU_DEP_2)
	v_sub_co_u32 v5, vcc_lo, v3, v5
	v_add3_u32 v6, v6, v9, v8
	s_delay_alu instid0(VALU_DEP_1) | instskip(NEXT) | instid1(VALU_DEP_1)
	v_sub_nc_u32_e32 v8, v4, v6
	v_subrev_co_ci_u32_e64 v8, s2, s25, v8, vcc_lo
	v_add_co_u32 v9, s2, v2, 2
	s_delay_alu instid0(VALU_DEP_1) | instskip(SKIP_3) | instid1(VALU_DEP_3)
	v_add_co_ci_u32_e64 v10, s2, 0, v7, s2
	v_sub_co_u32 v11, s2, v5, s24
	v_sub_co_ci_u32_e32 v6, vcc_lo, v4, v6, vcc_lo
	v_subrev_co_ci_u32_e64 v8, s2, 0, v8, s2
	v_cmp_le_u32_e32 vcc_lo, s24, v11
	s_delay_alu instid0(VALU_DEP_3) | instskip(SKIP_1) | instid1(VALU_DEP_4)
	v_cmp_eq_u32_e64 s2, s25, v6
	v_cndmask_b32_e64 v11, 0, -1, vcc_lo
	v_cmp_le_u32_e32 vcc_lo, s25, v8
	v_cndmask_b32_e64 v12, 0, -1, vcc_lo
	v_cmp_le_u32_e32 vcc_lo, s24, v5
	;; [unrolled: 2-line block ×3, first 2 shown]
	v_cndmask_b32_e64 v13, 0, -1, vcc_lo
	v_cmp_eq_u32_e32 vcc_lo, s25, v8
	s_delay_alu instid0(VALU_DEP_2) | instskip(SKIP_3) | instid1(VALU_DEP_3)
	v_cndmask_b32_e64 v5, v13, v5, s2
	v_cndmask_b32_e32 v8, v12, v11, vcc_lo
	v_add_co_u32 v11, vcc_lo, v2, 1
	v_add_co_ci_u32_e32 v12, vcc_lo, 0, v7, vcc_lo
	v_cmp_ne_u32_e32 vcc_lo, 0, v8
	s_delay_alu instid0(VALU_DEP_2) | instskip(NEXT) | instid1(VALU_DEP_4)
	v_cndmask_b32_e32 v6, v12, v10, vcc_lo
	v_cndmask_b32_e32 v8, v11, v9, vcc_lo
	v_cmp_ne_u32_e32 vcc_lo, 0, v5
	s_delay_alu instid0(VALU_DEP_2)
	v_dual_cndmask_b32 v23, v7, v6 :: v_dual_cndmask_b32 v22, v2, v8
.LBB0_4:                                ;   in Loop: Header=BB0_2 Depth=1
	s_and_not1_saveexec_b32 s2, s3
	s_cbranch_execz .LBB0_6
; %bb.5:                                ;   in Loop: Header=BB0_2 Depth=1
	v_cvt_f32_u32_e32 v2, s24
	s_sub_i32 s3, 0, s24
	v_mov_b32_e32 v23, v1
	s_delay_alu instid0(VALU_DEP_2) | instskip(SKIP_2) | instid1(VALU_DEP_1)
	v_rcp_iflag_f32_e32 v2, v2
	s_waitcnt_depctr 0xfff
	v_mul_f32_e32 v2, 0x4f7ffffe, v2
	v_cvt_u32_f32_e32 v2, v2
	s_delay_alu instid0(VALU_DEP_1) | instskip(NEXT) | instid1(VALU_DEP_1)
	v_mul_lo_u32 v5, s3, v2
	v_mul_hi_u32 v5, v2, v5
	s_delay_alu instid0(VALU_DEP_1) | instskip(NEXT) | instid1(VALU_DEP_1)
	v_add_nc_u32_e32 v2, v2, v5
	v_mul_hi_u32 v2, v3, v2
	s_delay_alu instid0(VALU_DEP_1) | instskip(SKIP_1) | instid1(VALU_DEP_2)
	v_mul_lo_u32 v5, v2, s24
	v_add_nc_u32_e32 v6, 1, v2
	v_sub_nc_u32_e32 v5, v3, v5
	s_delay_alu instid0(VALU_DEP_1) | instskip(SKIP_1) | instid1(VALU_DEP_2)
	v_subrev_nc_u32_e32 v7, s24, v5
	v_cmp_le_u32_e32 vcc_lo, s24, v5
	v_dual_cndmask_b32 v5, v5, v7 :: v_dual_cndmask_b32 v2, v2, v6
	s_delay_alu instid0(VALU_DEP_1) | instskip(NEXT) | instid1(VALU_DEP_2)
	v_cmp_le_u32_e32 vcc_lo, s24, v5
	v_add_nc_u32_e32 v6, 1, v2
	s_delay_alu instid0(VALU_DEP_1)
	v_cndmask_b32_e32 v22, v2, v6, vcc_lo
.LBB0_6:                                ;   in Loop: Header=BB0_2 Depth=1
	s_or_b32 exec_lo, exec_lo, s2
	s_delay_alu instid0(VALU_DEP_1) | instskip(NEXT) | instid1(VALU_DEP_2)
	v_mul_lo_u32 v2, v23, s24
	v_mul_lo_u32 v7, v22, s25
	s_load_b64 s[2:3], s[14:15], 0x0
	v_mad_u64_u32 v[5:6], null, v22, s24, 0
	s_load_b64 s[24:25], s[12:13], 0x0
	s_add_u32 s22, s22, 1
	s_addc_u32 s23, s23, 0
	s_add_u32 s12, s12, 8
	s_addc_u32 s13, s13, 0
	s_add_u32 s14, s14, 8
	s_delay_alu instid0(VALU_DEP_1) | instskip(SKIP_3) | instid1(VALU_DEP_2)
	v_add3_u32 v2, v6, v7, v2
	v_sub_co_u32 v6, vcc_lo, v3, v5
	s_addc_u32 s15, s15, 0
	s_add_u32 s20, s20, 8
	v_sub_co_ci_u32_e32 v4, vcc_lo, v4, v2, vcc_lo
	s_addc_u32 s21, s21, 0
	s_waitcnt lgkmcnt(0)
	s_delay_alu instid0(VALU_DEP_1)
	v_mul_lo_u32 v7, s2, v4
	v_mul_lo_u32 v8, s3, v6
	v_mad_u64_u32 v[2:3], null, s2, v6, v[16:17]
	v_mul_lo_u32 v9, s24, v4
	v_mul_lo_u32 v10, s25, v6
	v_mad_u64_u32 v[4:5], null, s24, v6, v[20:21]
	v_cmp_ge_u64_e64 s2, s[22:23], s[10:11]
	v_add3_u32 v17, v8, v3, v7
	v_mov_b32_e32 v16, v2
	s_delay_alu instid0(VALU_DEP_4)
	v_add3_u32 v21, v10, v5, v9
	v_mov_b32_e32 v20, v4
	s_and_b32 vcc_lo, exec_lo, s2
	s_cbranch_vccnz .LBB0_9
; %bb.7:                                ;   in Loop: Header=BB0_2 Depth=1
	v_dual_mov_b32 v3, v22 :: v_dual_mov_b32 v4, v23
	s_branch .LBB0_2
.LBB0_8:
	v_dual_mov_b32 v21, v17 :: v_dual_mov_b32 v20, v16
	v_dual_mov_b32 v23, v4 :: v_dual_mov_b32 v22, v3
.LBB0_9:
	s_load_b64 s[0:1], s[0:1], 0x28
	s_lshl_b64 s[10:11], s[10:11], 3
	v_mul_hi_u32 v1, 0x1ca4b31, v0
	s_add_u32 s2, s18, s10
	s_addc_u32 s3, s19, s11
	v_dual_mov_b32 v27, 0 :: v_dual_mov_b32 v24, 0
	s_load_b64 s[2:3], s[2:3], 0x0
	v_mov_b32_e32 v26, 0
                                        ; implicit-def: $vgpr33
                                        ; implicit-def: $vgpr29
                                        ; implicit-def: $vgpr15
                                        ; implicit-def: $vgpr11
                                        ; implicit-def: $vgpr7
                                        ; implicit-def: $vgpr3
                                        ; implicit-def: $vgpr31
                                        ; implicit-def: $vgpr19
                                        ; implicit-def: $vgpr13
                                        ; implicit-def: $vgpr9
                                        ; implicit-def: $vgpr5
	s_delay_alu instid0(VALU_DEP_3) | instskip(NEXT) | instid1(VALU_DEP_1)
	v_mul_u32_u24_e32 v1, 0x8f, v1
	v_sub_nc_u32_e32 v25, v0, v1
                                        ; implicit-def: $vgpr1
	s_waitcnt lgkmcnt(0)
	v_cmp_gt_u64_e32 vcc_lo, s[0:1], v[22:23]
	s_and_saveexec_b32 s1, vcc_lo
	s_cbranch_execz .LBB0_13
; %bb.10:
	v_dual_mov_b32 v26, 0 :: v_dual_mov_b32 v27, 0
	s_mov_b32 s12, exec_lo
                                        ; implicit-def: $vgpr4
                                        ; implicit-def: $vgpr8
                                        ; implicit-def: $vgpr12
                                        ; implicit-def: $vgpr18
                                        ; implicit-def: $vgpr30
                                        ; implicit-def: $vgpr0
                                        ; implicit-def: $vgpr2
                                        ; implicit-def: $vgpr6
                                        ; implicit-def: $vgpr10
                                        ; implicit-def: $vgpr14
                                        ; implicit-def: $vgpr28
                                        ; implicit-def: $vgpr32
	v_cmpx_gt_u32_e32 0x6e, v25
	s_cbranch_execz .LBB0_12
; %bb.11:
	s_add_u32 s10, s16, s10
	s_addc_u32 s11, s17, s11
	v_mov_b32_e32 v26, 0
	s_load_b64 s[10:11], s[10:11], 0x0
	s_waitcnt lgkmcnt(0)
	v_mul_lo_u32 v2, s11, v22
	v_mul_lo_u32 v3, s10, v23
	v_mad_u64_u32 v[0:1], null, s10, v22, 0
	s_delay_alu instid0(VALU_DEP_1) | instskip(SKIP_1) | instid1(VALU_DEP_2)
	v_add3_u32 v1, v1, v3, v2
	v_lshlrev_b64 v[2:3], 3, v[16:17]
	v_lshlrev_b64 v[0:1], 3, v[0:1]
	s_delay_alu instid0(VALU_DEP_1) | instskip(NEXT) | instid1(VALU_DEP_1)
	v_add_co_u32 v4, s0, s4, v0
	v_add_co_ci_u32_e64 v5, s0, s5, v1, s0
	v_lshlrev_b64 v[0:1], 3, v[25:26]
	s_delay_alu instid0(VALU_DEP_3) | instskip(NEXT) | instid1(VALU_DEP_1)
	v_add_co_u32 v2, s0, v4, v2
	v_add_co_ci_u32_e64 v3, s0, v5, v3, s0
	s_delay_alu instid0(VALU_DEP_2) | instskip(NEXT) | instid1(VALU_DEP_1)
	v_add_co_u32 v0, s0, v2, v0
	v_add_co_ci_u32_e64 v1, s0, v3, v1, s0
	s_clause 0x3
	global_load_b64 v[26:27], v[0:1], off
	global_load_b64 v[32:33], v[0:1], off offset:880
	global_load_b64 v[28:29], v[0:1], off offset:1760
	;; [unrolled: 1-line block ×3, first 2 shown]
	v_add_co_u32 v12, s0, 0x1000, v0
	s_delay_alu instid0(VALU_DEP_1) | instskip(SKIP_1) | instid1(VALU_DEP_1)
	v_add_co_ci_u32_e64 v13, s0, 0, v1, s0
	v_add_co_u32 v16, s0, 0x2000, v0
	v_add_co_ci_u32_e64 v17, s0, 0, v1, s0
	s_clause 0x8
	global_load_b64 v[10:11], v[0:1], off offset:3520
	global_load_b64 v[6:7], v[12:13], off offset:304
	;; [unrolled: 1-line block ×9, first 2 shown]
.LBB0_12:
	s_or_b32 exec_lo, exec_lo, s12
	v_mov_b32_e32 v24, v25
.LBB0_13:
	s_or_b32 exec_lo, exec_lo, s1
	s_waitcnt vmcnt(11)
	v_dual_add_f32 v16, v26, v32 :: v_dual_add_f32 v17, v27, v33
	s_waitcnt vmcnt(0)
	v_add_f32_e32 v38, v32, v0
	v_dual_add_f32 v36, v33, v1 :: v_dual_sub_f32 v39, v32, v0
	s_delay_alu instid0(VALU_DEP_3) | instskip(NEXT) | instid1(VALU_DEP_3)
	v_dual_add_f32 v16, v16, v28 :: v_dual_sub_f32 v37, v33, v1
	v_dual_add_f32 v17, v17, v29 :: v_dual_mul_f32 v32, 0x3f62ad3f, v38
	v_add_f32_e32 v59, v28, v30
	s_delay_alu instid0(VALU_DEP_3) | instskip(NEXT) | instid1(VALU_DEP_3)
	v_dual_add_f32 v16, v16, v14 :: v_dual_mul_f32 v33, 0xbeedf032, v39
	v_dual_add_f32 v17, v17, v15 :: v_dual_mul_f32 v34, 0x3f116cb1, v38
	s_delay_alu instid0(VALU_DEP_2) | instskip(SKIP_1) | instid1(VALU_DEP_3)
	v_dual_mul_f32 v35, 0xbf52af12, v39 :: v_dual_add_f32 v16, v16, v10
	v_dual_mul_f32 v40, 0xbf7e222b, v37 :: v_dual_mul_f32 v41, 0xbf7e222b, v39
	v_dual_add_f32 v17, v17, v11 :: v_dual_mul_f32 v42, 0xbf6f5d39, v37
	s_delay_alu instid0(VALU_DEP_3) | instskip(SKIP_1) | instid1(VALU_DEP_3)
	v_dual_add_f32 v16, v16, v6 :: v_dual_mul_f32 v43, 0xbf6f5d39, v39
	v_fmamk_f32 v45, v37, 0xbeedf032, v32
	v_dual_add_f32 v17, v17, v7 :: v_dual_mul_f32 v44, 0xbf29c268, v37
	s_delay_alu instid0(VALU_DEP_3) | instskip(SKIP_1) | instid1(VALU_DEP_3)
	v_dual_add_f32 v16, v16, v2 :: v_dual_fmamk_f32 v47, v37, 0xbf52af12, v34
	v_fma_f32 v46, 0x3f62ad3f, v36, -v33
	v_add_f32_e32 v17, v17, v3
	v_fma_f32 v48, 0x3f116cb1, v36, -v35
	s_delay_alu instid0(VALU_DEP_4)
	v_add_f32_e32 v16, v16, v4
	v_fma_f32 v50, 0x3df6dbef, v36, -v41
	v_fmac_f32_e32 v41, 0x3df6dbef, v36
	v_add_f32_e32 v17, v17, v5
	v_dual_fmamk_f32 v51, v38, 0xbeb58ec6, v42 :: v_dual_add_f32 v48, v27, v48
	v_dual_add_f32 v16, v8, v16 :: v_dual_fmamk_f32 v49, v38, 0x3df6dbef, v40
	s_delay_alu instid0(VALU_DEP_3) | instskip(SKIP_1) | instid1(VALU_DEP_3)
	v_dual_add_f32 v17, v9, v17 :: v_dual_add_f32 v46, v27, v46
	v_fma_f32 v40, 0x3df6dbef, v38, -v40
	v_add_f32_e32 v16, v12, v16
	v_fma_f32 v52, 0xbeb58ec6, v36, -v43
	s_delay_alu instid0(VALU_DEP_4)
	v_add_f32_e32 v17, v13, v17
	v_add_f32_e32 v49, v26, v49
	;; [unrolled: 1-line block ×4, first 2 shown]
	v_dual_fmac_f32 v43, 0xbeb58ec6, v36 :: v_dual_sub_f32 v28, v28, v30
	v_dual_add_f32 v17, v19, v17 :: v_dual_mul_f32 v40, 0xbf29c268, v39
	s_delay_alu instid0(VALU_DEP_3) | instskip(SKIP_2) | instid1(VALU_DEP_4)
	v_add_f32_e32 v16, v30, v16
	v_fma_f32 v42, 0xbeb58ec6, v38, -v42
	v_add_f32_e32 v45, v26, v45
	v_add_f32_e32 v17, v31, v17
	v_dual_add_f32 v50, v27, v50 :: v_dual_add_f32 v47, v26, v47
	v_add_f32_e32 v54, v27, v41
	v_add_f32_e32 v0, v0, v16
	s_delay_alu instid0(VALU_DEP_4)
	v_dual_add_f32 v16, v26, v51 :: v_dual_add_f32 v1, v1, v17
	v_dual_add_f32 v42, v26, v42 :: v_dual_add_f32 v51, v27, v52
	v_add_f32_e32 v43, v27, v43
	v_mul_f32_e32 v52, 0xbe750f2a, v39
	v_fma_f32 v39, 0xbf3f9e67, v36, -v40
	v_fmac_f32_e32 v40, 0xbf3f9e67, v36
	v_fmamk_f32 v17, v38, 0xbf3f9e67, v44
	v_fma_f32 v44, 0xbf3f9e67, v38, -v44
	v_mul_f32_e32 v41, 0xbe750f2a, v37
	v_fma_f32 v56, 0xbf788fa5, v36, -v52
	v_add_f32_e32 v58, v27, v40
	v_add_f32_e32 v40, v29, v31
	;; [unrolled: 1-line block ×3, first 2 shown]
	v_dual_fmamk_f32 v55, v38, 0xbf788fa5, v41 :: v_dual_fmac_f32 v52, 0xbf788fa5, v36
	v_fma_f32 v38, 0xbf788fa5, v38, -v41
	v_add_f32_e32 v57, v27, v39
	v_sub_f32_e32 v39, v29, v31
	v_mul_f32_e32 v31, 0xbf52af12, v28
	v_mul_f32_e32 v41, 0xbf6f5d39, v28
	;; [unrolled: 1-line block ×3, first 2 shown]
	s_delay_alu instid0(VALU_DEP_4) | instskip(NEXT) | instid1(VALU_DEP_4)
	v_dual_add_f32 v60, v26, v38 :: v_dual_mul_f32 v61, 0xbe750f2a, v39
	v_fma_f32 v62, 0x3f116cb1, v40, -v31
	s_delay_alu instid0(VALU_DEP_4) | instskip(SKIP_2) | instid1(VALU_DEP_4)
	v_fma_f32 v63, 0xbeb58ec6, v40, -v41
	v_dual_add_f32 v17, v26, v17 :: v_dual_add_f32 v56, v27, v56
	v_dual_add_f32 v55, v26, v55 :: v_dual_add_f32 v52, v27, v52
	v_add_f32_e32 v62, v46, v62
	v_mul_f32_e32 v46, 0xbe750f2a, v28
	v_fmamk_f32 v64, v59, 0xbf788fa5, v61
	v_dual_fmamk_f32 v29, v39, 0xbf52af12, v30 :: v_dual_add_f32 v48, v48, v63
	v_mul_f32_e32 v38, 0xbeb58ec6, v59
	v_fma_f32 v61, 0xbf788fa5, v59, -v61
	s_delay_alu instid0(VALU_DEP_3) | instskip(NEXT) | instid1(VALU_DEP_3)
	v_dual_add_f32 v66, v14, v18 :: v_dual_add_f32 v29, v45, v29
	v_dual_add_f32 v68, v10, v12 :: v_dual_fmamk_f32 v45, v39, 0xbf6f5d39, v38
	s_delay_alu instid0(VALU_DEP_3)
	v_add_f32_e32 v53, v53, v61
	s_mov_b32 s1, exec_lo
	v_sub_f32_e32 v14, v14, v18
	v_add_f32_e32 v75, v2, v4
	v_add_f32_e32 v65, v47, v45
	v_mul_f32_e32 v45, 0x3f29c268, v39
	v_add_f32_e32 v49, v49, v64
	v_fma_f32 v47, 0xbf788fa5, v40, -v46
	v_fmac_f32_e32 v46, 0xbf788fa5, v40
	s_delay_alu instid0(VALU_DEP_4) | instskip(NEXT) | instid1(VALU_DEP_3)
	v_fmamk_f32 v64, v59, 0xbf3f9e67, v45
	v_add_f32_e32 v50, v50, v47
	s_delay_alu instid0(VALU_DEP_3) | instskip(NEXT) | instid1(VALU_DEP_3)
	v_add_f32_e32 v54, v54, v46
	v_add_f32_e32 v16, v16, v64
	v_fma_f32 v45, 0xbf3f9e67, v59, -v45
	s_delay_alu instid0(VALU_DEP_1) | instskip(NEXT) | instid1(VALU_DEP_1)
	v_dual_mul_f32 v63, 0x3f29c268, v28 :: v_dual_add_f32 v64, v42, v45
	v_fma_f32 v46, 0xbf3f9e67, v40, -v63
	v_fmac_f32_e32 v63, 0xbf3f9e67, v40
	s_delay_alu instid0(VALU_DEP_2) | instskip(NEXT) | instid1(VALU_DEP_2)
	v_dual_mul_f32 v42, 0x3eedf032, v39 :: v_dual_add_f32 v51, v51, v46
	v_dual_mul_f32 v46, 0x3f7e222b, v28 :: v_dual_add_f32 v63, v43, v63
	v_mul_f32_e32 v28, 0x3eedf032, v28
	s_delay_alu instid0(VALU_DEP_2) | instskip(SKIP_2) | instid1(VALU_DEP_2)
	v_fma_f32 v43, 0x3df6dbef, v40, -v46
	v_fmac_f32_e32 v46, 0x3df6dbef, v40
	v_mul_f32_e32 v47, 0x3f7e222b, v39
	v_dual_add_f32 v57, v57, v43 :: v_dual_add_f32 v58, v58, v46
	s_delay_alu instid0(VALU_DEP_2) | instskip(SKIP_3) | instid1(VALU_DEP_4)
	v_fmamk_f32 v61, v59, 0x3df6dbef, v47
	v_fma_f32 v45, 0x3df6dbef, v59, -v47
	v_fma_f32 v43, 0x3f62ad3f, v40, -v28
	v_fmamk_f32 v47, v59, 0x3f62ad3f, v42
	v_dual_fmac_f32 v28, 0x3f62ad3f, v40 :: v_dual_add_f32 v17, v17, v61
	s_delay_alu instid0(VALU_DEP_4) | instskip(SKIP_1) | instid1(VALU_DEP_3)
	v_add_f32_e32 v61, v44, v45
	v_fma_f32 v44, 0x3f62ad3f, v59, -v42
	v_dual_sub_f32 v45, v15, v19 :: v_dual_add_f32 v28, v52, v28
	v_mul_f32_e32 v42, 0x3df6dbef, v66
	v_add_f32_e32 v56, v56, v43
	s_delay_alu instid0(VALU_DEP_4) | instskip(SKIP_1) | instid1(VALU_DEP_4)
	v_dual_add_f32 v55, v55, v47 :: v_dual_add_f32 v18, v60, v44
	v_dual_add_f32 v46, v15, v19 :: v_dual_mul_f32 v47, 0xbe750f2a, v14
	v_dual_fmamk_f32 v52, v45, 0xbf7e222b, v42 :: v_dual_mul_f32 v43, 0xbf7e222b, v14
	v_mul_f32_e32 v44, 0xbf788fa5, v66
	v_dual_mul_f32 v19, 0x3f6f5d39, v45 :: v_dual_mul_f32 v60, 0x3f6f5d39, v14
	s_delay_alu instid0(VALU_DEP_4) | instskip(NEXT) | instid1(VALU_DEP_4)
	v_fma_f32 v59, 0xbf788fa5, v46, -v47
	v_add_f32_e32 v15, v29, v52
	v_fma_f32 v29, 0x3df6dbef, v46, -v43
	v_fmamk_f32 v52, v45, 0xbe750f2a, v44
	v_fmamk_f32 v67, v66, 0xbeb58ec6, v19
	v_add_f32_e32 v59, v48, v59
	v_fma_f32 v48, 0xbeb58ec6, v46, -v60
	v_dual_fmac_f32 v60, 0xbeb58ec6, v46 :: v_dual_add_f32 v29, v62, v29
	v_add_f32_e32 v62, v65, v52
	v_add_f32_e32 v65, v49, v67
	v_fma_f32 v19, 0xbeb58ec6, v66, -v19
	v_dual_add_f32 v67, v50, v48 :: v_dual_mul_f32 v52, 0xbf52af12, v45
	v_dual_mul_f32 v48, 0x3eedf032, v14 :: v_dual_mul_f32 v49, 0x3eedf032, v45
	s_delay_alu instid0(VALU_DEP_3) | instskip(NEXT) | instid1(VALU_DEP_2)
	v_dual_add_f32 v54, v54, v60 :: v_dual_add_f32 v19, v53, v19
	v_fma_f32 v53, 0x3f62ad3f, v46, -v48
	s_delay_alu instid0(VALU_DEP_3) | instskip(SKIP_1) | instid1(VALU_DEP_3)
	v_fmamk_f32 v50, v66, 0x3f62ad3f, v49
	v_fma_f32 v49, 0x3f62ad3f, v66, -v49
	v_add_f32_e32 v60, v51, v53
	v_fma_f32 v51, 0x3f116cb1, v66, -v52
	v_fmac_f32_e32 v48, 0x3f62ad3f, v46
	s_delay_alu instid0(VALU_DEP_4) | instskip(NEXT) | instid1(VALU_DEP_3)
	v_dual_add_f32 v64, v64, v49 :: v_dual_mul_f32 v49, 0xbf52af12, v14
	v_dual_add_f32 v61, v61, v51 :: v_dual_add_f32 v16, v16, v50
	s_delay_alu instid0(VALU_DEP_3) | instskip(SKIP_1) | instid1(VALU_DEP_2)
	v_dual_add_f32 v63, v63, v48 :: v_dual_fmamk_f32 v50, v66, 0x3f116cb1, v52
	v_dual_sub_f32 v51, v11, v13 :: v_dual_sub_f32 v10, v10, v12
	v_add_f32_e32 v17, v17, v50
	v_fma_f32 v50, 0x3f116cb1, v46, -v49
	v_mul_f32_e32 v48, 0xbf29c268, v45
	v_fmac_f32_e32 v49, 0x3f116cb1, v46
	s_delay_alu instid0(VALU_DEP_2) | instskip(NEXT) | instid1(VALU_DEP_1)
	v_dual_add_f32 v57, v57, v50 :: v_dual_fmamk_f32 v52, v66, 0xbf3f9e67, v48
	v_dual_mul_f32 v14, 0xbf29c268, v14 :: v_dual_add_f32 v55, v55, v52
	s_delay_alu instid0(VALU_DEP_1)
	v_fma_f32 v53, 0xbf3f9e67, v46, -v14
	v_dual_add_f32 v52, v11, v13 :: v_dual_mul_f32 v13, 0x3eedf032, v51
	v_add_f32_e32 v58, v58, v49
	v_fma_f32 v49, 0xbf3f9e67, v66, -v48
	v_mul_f32_e32 v48, 0xbeb58ec6, v68
	v_dual_add_f32 v56, v56, v53 :: v_dual_mul_f32 v53, 0x3f29c268, v10
	v_mul_f32_e32 v50, 0xbf3f9e67, v68
	s_delay_alu instid0(VALU_DEP_4) | instskip(NEXT) | instid1(VALU_DEP_4)
	v_dual_add_f32 v12, v18, v49 :: v_dual_mul_f32 v49, 0xbf6f5d39, v10
	v_fmamk_f32 v11, v51, 0xbf6f5d39, v48
	v_fmac_f32_e32 v14, 0xbf3f9e67, v46
	v_fmamk_f32 v66, v68, 0x3f62ad3f, v13
	v_fma_f32 v13, 0x3f62ad3f, v68, -v13
	v_fma_f32 v18, 0xbeb58ec6, v52, -v49
	s_delay_alu instid0(VALU_DEP_4) | instskip(SKIP_1) | instid1(VALU_DEP_3)
	v_dual_add_f32 v11, v15, v11 :: v_dual_add_f32 v14, v28, v14
	v_fmamk_f32 v15, v51, 0x3f29c268, v50
	v_dual_add_f32 v13, v19, v13 :: v_dual_add_f32 v18, v29, v18
	v_mul_f32_e32 v29, 0x3eedf032, v10
	v_fma_f32 v28, 0xbf3f9e67, v52, -v53
	s_delay_alu instid0(VALU_DEP_4) | instskip(SKIP_1) | instid1(VALU_DEP_4)
	v_dual_add_f32 v15, v62, v15 :: v_dual_add_f32 v62, v65, v66
	v_mul_f32_e32 v66, 0xbf7e222b, v10
	v_fma_f32 v65, 0x3f62ad3f, v52, -v29
	s_delay_alu instid0(VALU_DEP_4) | instskip(SKIP_1) | instid1(VALU_DEP_3)
	v_dual_add_f32 v28, v59, v28 :: v_dual_mul_f32 v59, 0xbf7e222b, v51
	v_fmac_f32_e32 v29, 0x3f62ad3f, v52
	v_add_f32_e32 v65, v67, v65
	s_delay_alu instid0(VALU_DEP_3) | instskip(NEXT) | instid1(VALU_DEP_3)
	v_fmamk_f32 v69, v68, 0x3df6dbef, v59
	v_add_f32_e32 v19, v54, v29
	v_fma_f32 v29, 0x3df6dbef, v52, -v66
	v_mul_f32_e32 v54, 0x3e750f2a, v51
	v_fma_f32 v59, 0x3df6dbef, v68, -v59
	s_delay_alu instid0(VALU_DEP_3) | instskip(SKIP_1) | instid1(VALU_DEP_4)
	v_dual_add_f32 v29, v60, v29 :: v_dual_fmac_f32 v66, 0x3df6dbef, v52
	v_dual_add_f32 v16, v16, v69 :: v_dual_add_f32 v69, v6, v8
	v_fmamk_f32 v67, v68, 0xbf788fa5, v54
	v_fma_f32 v54, 0xbf788fa5, v68, -v54
	v_add_f32_e32 v64, v64, v59
	v_mul_f32_e32 v59, 0x3f52af12, v51
	s_delay_alu instid0(VALU_DEP_4) | instskip(SKIP_2) | instid1(VALU_DEP_4)
	v_add_f32_e32 v17, v17, v67
	v_add_f32_e32 v63, v63, v66
	;; [unrolled: 1-line block ×3, first 2 shown]
	v_fmamk_f32 v67, v68, 0x3f116cb1, v59
	v_mul_f32_e32 v60, 0x3e750f2a, v10
	v_mul_f32_e32 v10, 0x3f52af12, v10
	s_delay_alu instid0(VALU_DEP_3) | instskip(NEXT) | instid1(VALU_DEP_3)
	v_dual_mul_f32 v54, 0xbf3f9e67, v69 :: v_dual_add_f32 v67, v55, v67
	v_fma_f32 v66, 0xbf788fa5, v52, -v60
	v_fmac_f32_e32 v60, 0xbf788fa5, v52
	s_delay_alu instid0(VALU_DEP_4) | instskip(NEXT) | instid1(VALU_DEP_3)
	v_fma_f32 v55, 0x3f116cb1, v52, -v10
	v_dual_add_f32 v66, v57, v66 :: v_dual_sub_f32 v57, v7, v9
	s_delay_alu instid0(VALU_DEP_3) | instskip(SKIP_2) | instid1(VALU_DEP_2)
	v_add_f32_e32 v60, v58, v60
	v_fma_f32 v58, 0x3f116cb1, v68, -v59
	v_sub_f32_e32 v6, v6, v8
	v_add_f32_e32 v8, v12, v58
	v_fmamk_f32 v12, v57, 0xbf29c268, v54
	v_add_f32_e32 v58, v7, v9
	v_mul_f32_e32 v9, 0xbf52af12, v57
	v_dual_mul_f32 v59, 0x3f7e222b, v6 :: v_dual_add_f32 v68, v56, v55
	v_mul_f32_e32 v55, 0xbf29c268, v6
	v_mul_f32_e32 v56, 0x3df6dbef, v69
	s_delay_alu instid0(VALU_DEP_4) | instskip(SKIP_1) | instid1(VALU_DEP_4)
	v_dual_fmac_f32 v10, 0x3f116cb1, v52 :: v_dual_fmamk_f32 v71, v69, 0x3f116cb1, v9
	v_add_f32_e32 v7, v11, v12
	v_fma_f32 v11, 0xbf3f9e67, v58, -v55
	s_delay_alu instid0(VALU_DEP_4) | instskip(SKIP_1) | instid1(VALU_DEP_3)
	v_fmamk_f32 v12, v57, 0x3f7e222b, v56
	v_fma_f32 v9, 0x3f116cb1, v69, -v9
	v_dual_mul_f32 v70, 0xbf52af12, v6 :: v_dual_add_f32 v11, v18, v11
	s_delay_alu instid0(VALU_DEP_3) | instskip(SKIP_1) | instid1(VALU_DEP_4)
	v_add_f32_e32 v12, v15, v12
	v_add_f32_e32 v18, v62, v71
	v_dual_mul_f32 v62, 0x3e750f2a, v6 :: v_dual_add_f32 v9, v13, v9
	s_delay_alu instid0(VALU_DEP_4) | instskip(SKIP_2) | instid1(VALU_DEP_3)
	v_fma_f32 v15, 0x3f116cb1, v58, -v70
	v_add_f32_e32 v10, v14, v10
	v_fma_f32 v14, 0x3df6dbef, v58, -v59
	v_dual_fmac_f32 v70, 0x3f116cb1, v58 :: v_dual_add_f32 v15, v65, v15
	s_delay_alu instid0(VALU_DEP_2) | instskip(NEXT) | instid1(VALU_DEP_2)
	v_dual_mul_f32 v65, 0x3eedf032, v57 :: v_dual_add_f32 v14, v28, v14
	v_add_f32_e32 v19, v19, v70
	v_fma_f32 v70, 0xbf788fa5, v58, -v62
	v_fmac_f32_e32 v62, 0xbf788fa5, v58
	s_delay_alu instid0(VALU_DEP_1) | instskip(SKIP_1) | instid1(VALU_DEP_1)
	v_add_f32_e32 v72, v63, v62
	v_fma_f32 v62, 0x3f62ad3f, v69, -v65
	v_dual_mul_f32 v28, 0x3e750f2a, v57 :: v_dual_add_f32 v73, v61, v62
	s_delay_alu instid0(VALU_DEP_1) | instskip(SKIP_1) | instid1(VALU_DEP_2)
	v_fmamk_f32 v13, v69, 0xbf788fa5, v28
	v_fma_f32 v28, 0xbf788fa5, v69, -v28
	v_dual_add_f32 v13, v16, v13 :: v_dual_fmamk_f32 v16, v69, 0x3f62ad3f, v65
	v_add_f32_e32 v65, v3, v5
	s_delay_alu instid0(VALU_DEP_3) | instskip(NEXT) | instid1(VALU_DEP_3)
	v_add_f32_e32 v71, v64, v28
	v_dual_add_f32 v16, v17, v16 :: v_dual_mul_f32 v17, 0xbf6f5d39, v57
	s_delay_alu instid0(VALU_DEP_1) | instskip(SKIP_3) | instid1(VALU_DEP_4)
	v_fmamk_f32 v63, v69, 0xbeb58ec6, v17
	v_fma_f32 v17, 0xbeb58ec6, v69, -v17
	v_dual_sub_f32 v69, v2, v4 :: v_dual_mul_f32 v28, 0x3eedf032, v6
	v_mul_f32_e32 v6, 0xbf6f5d39, v6
	v_dual_add_f32 v70, v29, v70 :: v_dual_add_f32 v67, v67, v63
	s_delay_alu instid0(VALU_DEP_3) | instskip(SKIP_1) | instid1(VALU_DEP_4)
	v_mul_f32_e32 v61, 0xbe750f2a, v69
	v_mul_f32_e32 v63, 0x3eedf032, v69
	v_fma_f32 v64, 0xbeb58ec6, v58, -v6
	v_fma_f32 v29, 0x3f62ad3f, v58, -v28
	v_add_f32_e32 v76, v8, v17
	s_delay_alu instid0(VALU_DEP_3)
	v_dual_mul_f32 v17, 0x3f52af12, v69 :: v_dual_add_f32 v68, v68, v64
	v_sub_f32_e32 v64, v3, v5
	v_fma_f32 v3, 0xbf788fa5, v65, -v61
	v_fma_f32 v5, 0x3f62ad3f, v65, -v63
	v_fmac_f32_e32 v28, 0x3f62ad3f, v58
	v_add_f32_e32 v66, v66, v29
	s_delay_alu instid0(VALU_DEP_4) | instskip(NEXT) | instid1(VALU_DEP_4)
	v_dual_mul_f32 v8, 0xbf29c268, v64 :: v_dual_add_f32 v3, v11, v3
	v_dual_fmac_f32 v6, 0xbeb58ec6, v58 :: v_dual_add_f32 v5, v14, v5
	s_delay_alu instid0(VALU_DEP_4) | instskip(SKIP_1) | instid1(VALU_DEP_3)
	v_add_f32_e32 v74, v60, v28
	v_mul_f32_e32 v11, 0x3f52af12, v64
	v_dual_mul_f32 v60, 0xbf788fa5, v75 :: v_dual_add_f32 v77, v10, v6
	v_fmamk_f32 v6, v75, 0xbf3f9e67, v8
	v_fma_f32 v8, 0xbf3f9e67, v75, -v8
	v_mul_f32_e32 v10, 0xbf29c268, v69
	s_delay_alu instid0(VALU_DEP_3) | instskip(NEXT) | instid1(VALU_DEP_3)
	v_add_f32_e32 v6, v18, v6
	v_add_f32_e32 v28, v9, v8
	v_fma_f32 v9, 0x3f116cb1, v65, -v17
	v_fmac_f32_e32 v17, 0x3f116cb1, v65
	s_delay_alu instid0(VALU_DEP_2) | instskip(NEXT) | instid1(VALU_DEP_1)
	v_dual_mul_f32 v62, 0x3f62ad3f, v75 :: v_dual_add_f32 v9, v70, v9
	v_fmamk_f32 v4, v64, 0x3eedf032, v62
	s_delay_alu instid0(VALU_DEP_1) | instskip(SKIP_2) | instid1(VALU_DEP_2)
	v_add_f32_e32 v4, v12, v4
	v_fmamk_f32 v12, v75, 0x3f116cb1, v11
	v_fma_f32 v11, 0x3f116cb1, v75, -v11
	v_dual_add_f32 v8, v13, v12 :: v_dual_mul_f32 v13, 0xbf6f5d39, v69
	s_delay_alu instid0(VALU_DEP_2) | instskip(NEXT) | instid1(VALU_DEP_2)
	v_add_f32_e32 v14, v71, v11
	v_fma_f32 v11, 0xbeb58ec6, v65, -v13
	v_fmac_f32_e32 v13, 0xbeb58ec6, v65
	s_delay_alu instid0(VALU_DEP_2) | instskip(NEXT) | instid1(VALU_DEP_1)
	v_dual_add_f32 v11, v66, v11 :: v_dual_fmamk_f32 v2, v64, 0xbe750f2a, v60
	v_dual_add_f32 v13, v74, v13 :: v_dual_add_f32 v2, v7, v2
	v_fma_f32 v7, 0xbf3f9e67, v65, -v10
	s_delay_alu instid0(VALU_DEP_1) | instskip(NEXT) | instid1(VALU_DEP_1)
	v_dual_fmac_f32 v10, 0xbf3f9e67, v65 :: v_dual_add_f32 v7, v15, v7
	v_add_f32_e32 v29, v19, v10
	v_mul_f32_e32 v19, 0x3f7e222b, v69
	v_dual_mul_f32 v10, 0xbf6f5d39, v64 :: v_dual_add_f32 v15, v72, v17
	s_delay_alu instid0(VALU_DEP_2) | instskip(NEXT) | instid1(VALU_DEP_2)
	v_fma_f32 v18, 0x3df6dbef, v65, -v19
	v_fmamk_f32 v12, v75, 0xbeb58ec6, v10
	v_fma_f32 v17, 0xbeb58ec6, v75, -v10
	s_delay_alu instid0(VALU_DEP_2) | instskip(SKIP_1) | instid1(VALU_DEP_3)
	v_dual_fmac_f32 v19, 0x3df6dbef, v65 :: v_dual_add_f32 v10, v16, v12
	v_mul_f32_e32 v16, 0x3f7e222b, v64
	v_add_f32_e32 v12, v73, v17
	s_delay_alu instid0(VALU_DEP_3) | instskip(NEXT) | instid1(VALU_DEP_3)
	v_add_f32_e32 v19, v77, v19
	v_fmamk_f32 v17, v75, 0x3df6dbef, v16
	v_fma_f32 v66, 0x3df6dbef, v75, -v16
	s_delay_alu instid0(VALU_DEP_2) | instskip(NEXT) | instid1(VALU_DEP_2)
	v_dual_add_f32 v16, v67, v17 :: v_dual_add_f32 v17, v68, v18
	v_add_f32_e32 v18, v76, v66
	v_cmpx_gt_u32_e32 0x6e, v25
	s_cbranch_execz .LBB0_15
; %bb.14:
	v_mul_f32_e32 v66, 0x3f116cb1, v36
	v_mul_f32_e32 v36, 0x3f62ad3f, v36
	;; [unrolled: 1-line block ×3, first 2 shown]
	s_delay_alu instid0(VALU_DEP_3) | instskip(NEXT) | instid1(VALU_DEP_2)
	v_add_f32_e32 v35, v66, v35
	v_dual_add_f32 v33, v36, v33 :: v_dual_sub_f32 v30, v30, v68
	s_delay_alu instid0(VALU_DEP_2) | instskip(NEXT) | instid1(VALU_DEP_1)
	v_dual_add_f32 v35, v27, v35 :: v_dual_mul_f32 v66, 0xbeb58ec6, v40
	v_dual_mul_f32 v40, 0x3f116cb1, v40 :: v_dual_add_f32 v41, v66, v41
	s_delay_alu instid0(VALU_DEP_1) | instskip(NEXT) | instid1(VALU_DEP_1)
	v_dual_add_f32 v35, v35, v41 :: v_dual_mul_f32 v66, 0xbf788fa5, v46
	v_dual_mul_f32 v46, 0x3df6dbef, v46 :: v_dual_add_f32 v41, v66, v47
	v_mul_f32_e32 v47, 0xbf3f9e67, v52
	s_delay_alu instid0(VALU_DEP_2) | instskip(NEXT) | instid1(VALU_DEP_2)
	v_dual_mul_f32 v70, 0xbf6f5d39, v51 :: v_dual_add_f32 v35, v35, v41
	v_add_f32_e32 v41, v47, v53
	v_mul_f32_e32 v47, 0x3df6dbef, v58
	v_mul_f32_e32 v52, 0xbeb58ec6, v52
	;; [unrolled: 1-line block ×3, first 2 shown]
	s_delay_alu instid0(VALU_DEP_4) | instskip(NEXT) | instid1(VALU_DEP_4)
	v_add_f32_e32 v35, v35, v41
	v_add_f32_e32 v41, v47, v59
	v_mul_f32_e32 v59, 0x3f62ad3f, v65
	v_mul_f32_e32 v67, 0xbeedf032, v37
	;; [unrolled: 1-line block ×4, first 2 shown]
	v_add_f32_e32 v35, v35, v41
	v_dual_add_f32 v36, v59, v63 :: v_dual_mul_f32 v69, 0xbf7e222b, v45
	v_sub_f32_e32 v32, v32, v67
	v_dual_sub_f32 v34, v34, v37 :: v_dual_mul_f32 v51, 0x3f29c268, v51
	v_add_f32_e32 v31, v40, v31
	v_mul_f32_e32 v45, 0xbe750f2a, v45
	v_sub_f32_e32 v37, v38, v39
	s_delay_alu instid0(VALU_DEP_4) | instskip(SKIP_3) | instid1(VALU_DEP_4)
	v_add_f32_e32 v34, v26, v34
	v_dual_add_f32 v26, v26, v32 :: v_dual_mul_f32 v57, 0x3f7e222b, v57
	v_mul_f32_e32 v53, 0xbf3f9e67, v58
	v_mul_f32_e32 v58, 0xbe750f2a, v64
	v_add_f32_e32 v32, v34, v37
	s_delay_alu instid0(VALU_DEP_4) | instskip(SKIP_4) | instid1(VALU_DEP_4)
	v_add_f32_e32 v26, v26, v30
	v_sub_f32_e32 v30, v42, v69
	v_mul_f32_e32 v47, 0xbf788fa5, v65
	v_dual_mul_f32 v64, 0x3eedf032, v64 :: v_dual_sub_f32 v37, v60, v58
	v_mad_u32_u24 v38, 0x68, v25, 0
	v_add_f32_e32 v26, v26, v30
	v_sub_f32_e32 v30, v48, v70
	v_add_f32_e32 v34, v47, v61
	s_delay_alu instid0(VALU_DEP_2) | instskip(SKIP_1) | instid1(VALU_DEP_1)
	v_dual_add_f32 v26, v26, v30 :: v_dual_add_f32 v27, v27, v33
	v_dual_sub_f32 v30, v54, v66 :: v_dual_sub_f32 v33, v44, v45
	v_add_f32_e32 v30, v26, v30
	s_delay_alu instid0(VALU_DEP_2) | instskip(NEXT) | instid1(VALU_DEP_2)
	v_dual_add_f32 v32, v32, v33 :: v_dual_sub_f32 v33, v50, v51
	v_dual_add_f32 v27, v27, v31 :: v_dual_add_f32 v30, v30, v37
	s_delay_alu instid0(VALU_DEP_2) | instskip(SKIP_1) | instid1(VALU_DEP_1)
	v_add_f32_e32 v32, v32, v33
	v_sub_f32_e32 v33, v56, v57
	v_dual_add_f32 v31, v46, v43 :: v_dual_add_f32 v32, v32, v33
	v_sub_f32_e32 v33, v62, v64
	s_delay_alu instid0(VALU_DEP_2) | instskip(SKIP_1) | instid1(VALU_DEP_1)
	v_add_f32_e32 v27, v27, v31
	v_add_f32_e32 v31, v52, v49
	v_dual_add_f32 v26, v32, v33 :: v_dual_add_f32 v27, v27, v31
	v_add_f32_e32 v31, v53, v55
	s_delay_alu instid0(VALU_DEP_1) | instskip(SKIP_1) | instid1(VALU_DEP_2)
	v_add_f32_e32 v31, v27, v31
	v_add_f32_e32 v27, v35, v36
	v_add_f32_e32 v31, v31, v34
	ds_store_2addr_b64 v38, v[0:1], v[2:3] offset1:1
	ds_store_2addr_b64 v38, v[4:5], v[6:7] offset0:2 offset1:3
	ds_store_2addr_b64 v38, v[8:9], v[10:11] offset0:4 offset1:5
	;; [unrolled: 1-line block ×5, first 2 shown]
	ds_store_b64 v38, v[30:31] offset:96
.LBB0_15:
	s_or_b32 exec_lo, exec_lo, s1
	v_cmp_gt_u32_e64 s0, 0x82, v25
	v_lshl_add_u32 v26, v25, 3, 0
	s_waitcnt lgkmcnt(0)
	s_barrier
	buffer_gl0_inv
	s_and_saveexec_b32 s1, s0
	s_cbranch_execz .LBB0_17
; %bb.16:
	v_add_nc_u32_e32 v4, 0x800, v26
	v_add_nc_u32_e32 v8, 0x1000, v26
	;; [unrolled: 1-line block ×4, first 2 shown]
	ds_load_2addr_b64 v[0:3], v26 offset1:130
	ds_load_2addr_b64 v[4:7], v4 offset0:4 offset1:134
	ds_load_2addr_b64 v[8:11], v8 offset0:8 offset1:138
	;; [unrolled: 1-line block ×4, first 2 shown]
	ds_load_b64 v[28:29], v26 offset:10400
.LBB0_17:
	s_or_b32 exec_lo, exec_lo, s1
	s_waitcnt lgkmcnt(0)
	s_barrier
	buffer_gl0_inv
	s_and_saveexec_b32 s1, s0
	s_cbranch_execz .LBB0_19
; %bb.18:
	v_and_b32_e32 v27, 0xff, v25
	s_delay_alu instid0(VALU_DEP_1) | instskip(NEXT) | instid1(VALU_DEP_1)
	v_mul_lo_u16 v27, 0x4f, v27
	v_lshrrev_b16 v27, 10, v27
	s_delay_alu instid0(VALU_DEP_1) | instskip(NEXT) | instid1(VALU_DEP_1)
	v_mul_lo_u16 v30, v27, 13
	v_sub_nc_u16 v30, v25, v30
	s_delay_alu instid0(VALU_DEP_1) | instskip(NEXT) | instid1(VALU_DEP_1)
	v_and_b32_e32 v30, 0xff, v30
	v_mul_u32_u24_e32 v31, 10, v30
	s_delay_alu instid0(VALU_DEP_1)
	v_lshlrev_b32_e32 v31, 3, v31
	s_clause 0x4
	global_load_b128 v[37:40], v31, s[8:9]
	global_load_b128 v[41:44], v31, s[8:9] offset:64
	global_load_b128 v[45:48], v31, s[8:9] offset:16
	;; [unrolled: 1-line block ×4, first 2 shown]
	v_and_b32_e32 v27, 0xffff, v27
	s_waitcnt vmcnt(4)
	v_dual_mul_f32 v57, v3, v38 :: v_dual_mul_f32 v58, v5, v40
	v_mul_f32_e32 v38, v2, v38
	s_delay_alu instid0(VALU_DEP_3)
	v_mul_u32_u24_e32 v27, 0x478, v27
	s_waitcnt vmcnt(3)
	v_dual_mul_f32 v31, v15, v42 :: v_dual_mul_f32 v40, v4, v40
	v_dual_fmac_f32 v57, v2, v37 :: v_dual_lshlrev_b32 v30, 3, v30
	s_waitcnt vmcnt(1)
	v_dual_mul_f32 v59, v7, v46 :: v_dual_mul_f32 v32, v13, v52
	v_dual_mul_f32 v52, v12, v52 :: v_dual_mul_f32 v33, v19, v50
	s_waitcnt vmcnt(0)
	v_dual_mul_f32 v36, v9, v48 :: v_dual_mul_f32 v35, v11, v54
	v_dual_mul_f32 v34, v17, v56 :: v_dual_fmac_f32 v31, v14, v41
	s_delay_alu instid0(VALU_DEP_3)
	v_fmac_f32_e32 v33, v18, v49
	v_add3_u32 v27, 0, v27, v30
	v_mul_f32_e32 v30, v29, v44
	v_mul_f32_e32 v44, v28, v44
	v_dual_mul_f32 v56, v16, v56 :: v_dual_fmac_f32 v35, v10, v53
	v_mul_f32_e32 v54, v10, v54
	v_fmac_f32_e32 v34, v16, v55
	v_fmac_f32_e32 v30, v28, v43
	;; [unrolled: 1-line block ×3, first 2 shown]
	v_mul_f32_e32 v46, v6, v46
	v_dual_mul_f32 v48, v8, v48 :: v_dual_fmac_f32 v59, v6, v45
	v_fma_f32 v2, v29, v43, -v44
	v_fma_f32 v6, v17, v55, -v56
	v_fmac_f32_e32 v32, v12, v51
	v_sub_f32_e32 v17, v36, v33
	v_fma_f32 v12, v7, v45, -v46
	v_add_f32_e32 v43, v0, v57
	v_fma_f32 v7, v11, v53, -v54
	v_fma_f32 v28, v3, v37, -v38
	;; [unrolled: 1-line block ×3, first 2 shown]
	s_delay_alu instid0(VALU_DEP_3) | instskip(SKIP_3) | instid1(VALU_DEP_4)
	v_add_f32_e32 v29, v7, v6
	v_mul_f32_e32 v42, v14, v42
	v_mul_f32_e32 v50, v18, v50
	v_fma_f32 v14, v5, v39, -v40
	v_mul_f32_e32 v82, 0xbf75a155, v29
	s_delay_alu instid0(VALU_DEP_4)
	v_fma_f32 v3, v15, v41, -v42
	v_add_f32_e32 v41, v59, v32
	v_fma_f32 v5, v19, v49, -v50
	v_dual_sub_f32 v19, v35, v34 :: v_dual_fmac_f32 v58, v4, v39
	v_sub_f32_e32 v9, v57, v30
	v_fma_f32 v4, v13, v51, -v52
	v_dual_add_f32 v10, v28, v2 :: v_dual_add_f32 v13, v14, v3
	s_delay_alu instid0(VALU_DEP_4) | instskip(SKIP_2) | instid1(VALU_DEP_3)
	v_dual_sub_f32 v11, v58, v31 :: v_dual_add_f32 v18, v8, v5
	v_dual_add_f32 v39, v58, v31 :: v_dual_sub_f32 v38, v28, v2
	v_sub_f32_e32 v15, v59, v32
	v_dual_mul_f32 v49, 0x3f0a6770, v11 :: v_dual_add_f32 v16, v12, v4
	v_dual_add_f32 v37, v57, v30 :: v_dual_sub_f32 v40, v14, v3
	v_dual_add_f32 v45, v36, v33 :: v_dual_add_f32 v28, v1, v28
	v_mul_f32_e32 v53, 0xbe903f40, v38
	v_mul_f32_e32 v51, 0x3f68dda4, v17
	v_dual_mul_f32 v60, 0xbf75a155, v18 :: v_dual_mul_f32 v65, 0xbf75a155, v13
	v_mul_f32_e32 v48, 0xbe903f40, v9
	v_dual_sub_f32 v42, v12, v4 :: v_dual_add_f32 v47, v35, v34
	v_dual_sub_f32 v44, v8, v5 :: v_dual_mul_f32 v55, 0xbf27a4f4, v10
	v_dual_sub_f32 v46, v7, v6 :: v_dual_mul_f32 v57, 0x3f575c64, v16
	v_dual_mul_f32 v50, 0xbf4178ce, v15 :: v_dual_mul_f32 v77, 0xbf4178ce, v40
	v_dual_mul_f32 v52, 0xbf7d64f0, v19 :: v_dual_mul_f32 v69, 0xbf7d64f0, v38
	v_mul_f32_e32 v62, 0xbf4178ce, v38
	v_dual_mul_f32 v63, 0x3f7d64f0, v40 :: v_dual_add_f32 v14, v28, v14
	v_mul_f32_e32 v64, 0xbe11bafb, v10
	v_dual_mul_f32 v67, 0x3f575c64, v18 :: v_dual_fmamk_f32 v94, v13, 0x3f575c64, v49
	v_mul_f32_e32 v54, 0x3f0a6770, v40
	v_dual_mul_f32 v68, 0xbf27a4f4, v29 :: v_dual_mul_f32 v81, 0xbf27a4f4, v18
	v_mul_f32_e32 v70, 0x3e903f40, v40
	v_dual_mul_f32 v71, 0x3ed4b147, v10 :: v_dual_fmamk_f32 v96, v18, 0x3ed4b147, v51
	v_mul_f32_e32 v73, 0xbf75a155, v16
	v_dual_mul_f32 v74, 0xbe11bafb, v18 :: v_dual_fmamk_f32 v107, v37, 0xbe11bafb, v69
	v_dual_mul_f32 v75, 0x3f575c64, v29 :: v_dual_mul_f32 v78, 0x3f575c64, v10
	v_mul_f32_e32 v76, 0xbf68dda4, v38
	v_dual_mul_f32 v79, 0x3ed4b147, v13 :: v_dual_add_f32 v28, v43, v58
	v_dual_mul_f32 v38, 0xbf0a6770, v38 :: v_dual_mul_f32 v87, 0xbf0a6770, v44
	v_fma_f32 v98, 0xbf75a155, v37, -v53
	v_fma_f32 v18, 0x3ed4b147, v18, -v51
	v_fmamk_f32 v51, v17, 0x3e903f40, v60
	v_fmac_f32_e32 v53, 0xbf75a155, v37
	v_fmamk_f32 v103, v11, 0xbe903f40, v65
	v_dual_fmamk_f32 v93, v10, 0xbf75a155, v48 :: v_dual_add_f32 v28, v28, v59
	v_fma_f32 v10, 0xbf75a155, v10, -v48
	v_dual_mul_f32 v56, 0xbe11bafb, v13 :: v_dual_fmamk_f32 v97, v29, 0xbe11bafb, v52
	v_dual_mul_f32 v61, 0x3ed4b147, v29 :: v_dual_mul_f32 v66, 0x3ed4b147, v16
	v_dual_mul_f32 v72, 0xbf27a4f4, v13 :: v_dual_fmamk_f32 v95, v16, 0xbf27a4f4, v50
	v_mul_f32_e32 v40, 0xbf68dda4, v40
	v_mul_f32_e32 v43, 0xbf4178ce, v42
	;; [unrolled: 1-line block ×3, first 2 shown]
	v_dual_mul_f32 v83, 0x3f68dda4, v42 :: v_dual_fmamk_f32 v108, v9, 0x3f68dda4, v71
	v_dual_mul_f32 v84, 0x3e903f40, v42 :: v_dual_fmac_f32 v65, 0x3e903f40, v11
	v_mul_f32_e32 v42, 0xbf7d64f0, v42
	v_dual_mul_f32 v85, 0x3f68dda4, v44 :: v_dual_mul_f32 v90, 0x3f68dda4, v46
	v_mul_f32_e32 v86, 0xbe903f40, v44
	v_mul_f32_e32 v88, 0x3f7d64f0, v44
	;; [unrolled: 1-line block ×3, first 2 shown]
	v_dual_mul_f32 v44, 0xbf4178ce, v44 :: v_dual_mul_f32 v91, 0xbf4178ce, v46
	v_add_f32_e32 v12, v14, v12
	v_mul_f32_e32 v92, 0x3f0a6770, v46
	v_fma_f32 v13, 0x3f575c64, v13, -v49
	v_dual_fmamk_f32 v48, v9, 0x3f4178ce, v55 :: v_dual_fmamk_f32 v111, v11, 0x3f4178ce, v72
	v_fmamk_f32 v101, v39, 0xbe11bafb, v63
	v_mul_f32_e32 v89, 0xbf7d64f0, v46
	v_fmamk_f32 v102, v9, 0x3f7d64f0, v64
	v_fmamk_f32 v105, v17, 0x3f0a6770, v67
	v_fma_f32 v99, 0x3f575c64, v39, -v54
	v_fmac_f32_e32 v54, 0x3f575c64, v39
	v_fmac_f32_e32 v55, 0xbf4178ce, v9
	v_fmamk_f32 v100, v37, 0xbf27a4f4, v62
	v_fmac_f32_e32 v64, 0xbf7d64f0, v9
	v_fmac_f32_e32 v71, 0xbf68dda4, v9
	v_fmamk_f32 v109, v37, 0x3ed4b147, v76
	v_fma_f32 v62, 0xbf27a4f4, v37, -v62
	v_fma_f32 v69, 0xbe11bafb, v37, -v69
	v_fmamk_f32 v110, v9, 0x3f0a6770, v78
	v_dual_fmac_f32 v78, 0xbf0a6770, v9 :: v_dual_add_f32 v71, v1, v71
	v_fmamk_f32 v9, v37, 0x3f575c64, v38
	v_fma_f32 v76, 0x3ed4b147, v37, -v76
	v_fma_f32 v37, 0x3f575c64, v37, -v38
	v_fmamk_f32 v38, v39, 0xbf75a155, v70
	v_dual_mul_f32 v46, 0xbe903f40, v46 :: v_dual_add_f32 v53, v0, v53
	v_fmamk_f32 v112, v15, 0xbe903f40, v73
	v_dual_fmac_f32 v73, 0x3e903f40, v15 :: v_dual_add_f32 v10, v1, v10
	v_fma_f32 v16, 0xbf27a4f4, v16, -v50
	v_fma_f32 v29, 0xbe11bafb, v29, -v52
	v_fmamk_f32 v49, v11, 0xbf7d64f0, v56
	v_fmamk_f32 v50, v15, 0x3f0a6770, v57
	v_dual_fmamk_f32 v104, v15, 0xbf68dda4, v66 :: v_dual_add_f32 v55, v1, v55
	v_fmamk_f32 v106, v19, 0x3f4178ce, v68
	v_fmamk_f32 v113, v17, 0xbf7d64f0, v74
	;; [unrolled: 1-line block ×3, first 2 shown]
	v_dual_fmamk_f32 v59, v11, 0x3f68dda4, v79 :: v_dual_fmac_f32 v66, 0x3f68dda4, v15
	v_fmac_f32_e32 v56, 0x3f7d64f0, v11
	v_fmac_f32_e32 v72, 0xbf4178ce, v11
	;; [unrolled: 1-line block ×5, first 2 shown]
	v_dual_fmac_f32 v67, 0xbf0a6770, v17 :: v_dual_add_f32 v48, v1, v48
	v_fmamk_f32 v14, v39, 0xbf27a4f4, v77
	v_fmac_f32_e32 v75, 0x3f0a6770, v19
	v_fma_f32 v63, 0xbe11bafb, v39, -v63
	v_fma_f32 v70, 0xbf75a155, v39, -v70
	;; [unrolled: 1-line block ×3, first 2 shown]
	v_dual_fmamk_f32 v115, v41, 0x3f575c64, v58 :: v_dual_add_f32 v76, v0, v76
	v_fma_f32 v58, 0x3f575c64, v41, -v58
	v_fmamk_f32 v116, v41, 0x3ed4b147, v83
	v_fma_f32 v83, 0x3ed4b147, v41, -v83
	v_fmamk_f32 v117, v41, 0xbf75a155, v84
	v_fma_f32 v84, 0xbf75a155, v41, -v84
	v_fmamk_f32 v118, v41, 0xbe11bafb, v42
	v_dual_fmamk_f32 v119, v45, 0xbf75a155, v86 :: v_dual_add_f32 v8, v12, v8
	v_fmac_f32_e32 v74, 0x3f7d64f0, v17
	v_fma_f32 v86, 0xbf75a155, v45, -v86
	v_dual_fmamk_f32 v120, v45, 0x3f575c64, v87 :: v_dual_fmamk_f32 v125, v47, 0x3f575c64, v92
	v_fma_f32 v87, 0x3f575c64, v45, -v87
	v_fmamk_f32 v121, v45, 0xbe11bafb, v88
	v_fmamk_f32 v11, v15, 0x3f7d64f0, v80
	v_fmac_f32_e32 v80, 0xbf7d64f0, v15
	v_fmamk_f32 v15, v17, 0x3f4178ce, v81
	v_fmac_f32_e32 v81, 0xbf4178ce, v17
	v_fma_f32 v88, 0xbe11bafb, v45, -v88
	v_fmamk_f32 v122, v45, 0xbf27a4f4, v44
	v_fma_f32 v44, 0xbf27a4f4, v45, -v44
	v_dual_fmamk_f32 v123, v47, 0x3ed4b147, v90 :: v_dual_add_f32 v12, v28, v36
	v_fma_f32 v90, 0x3ed4b147, v47, -v90
	v_fma_f32 v92, 0x3f575c64, v47, -v92
	v_fmamk_f32 v126, v47, 0xbf75a155, v46
	v_fma_f32 v46, 0xbf75a155, v47, -v46
	v_add_f32_e32 v9, v0, v9
	v_fmamk_f32 v17, v19, 0x3e903f40, v82
	v_fmac_f32_e32 v68, 0xbf4178ce, v19
	v_add_f32_e32 v62, v0, v62
	v_fmac_f32_e32 v82, 0xbe903f40, v19
	v_add_f32_e32 v64, v1, v64
	v_fmamk_f32 v124, v47, 0xbf27a4f4, v91
	v_fma_f32 v91, 0xbf27a4f4, v47, -v91
	v_dual_add_f32 v69, v0, v69 :: v_dual_fmamk_f32 v52, v19, 0xbf68dda4, v61
	v_fmac_f32_e32 v61, 0x3f68dda4, v19
	v_fmamk_f32 v19, v39, 0x3ed4b147, v40
	v_fma_f32 v39, 0x3ed4b147, v39, -v40
	v_fma_f32 v40, 0xbf27a4f4, v41, -v43
	v_fmac_f32_e32 v43, 0xbf27a4f4, v41
	v_fma_f32 v41, 0xbe11bafb, v41, -v42
	v_fma_f32 v42, 0x3ed4b147, v45, -v85
	v_fmac_f32_e32 v85, 0x3ed4b147, v45
	v_fma_f32 v45, 0xbe11bafb, v47, -v89
	v_fmac_f32_e32 v89, 0xbe11bafb, v47
	v_add_f32_e32 v47, v1, v93
	v_add_f32_e32 v93, v0, v98
	v_dual_add_f32 v10, v13, v10 :: v_dual_add_f32 v13, v54, v53
	v_add_f32_e32 v98, v0, v100
	v_add_f32_e32 v100, v1, v102
	v_dual_add_f32 v102, v0, v107 :: v_dual_add_f32 v107, v1, v108
	s_delay_alu instid0(VALU_DEP_4) | instskip(SKIP_4) | instid1(VALU_DEP_3)
	v_add_f32_e32 v13, v43, v13
	v_dual_add_f32 v108, v0, v109 :: v_dual_add_f32 v109, v1, v110
	v_dual_add_f32 v1, v1, v78 :: v_dual_add_f32 v0, v0, v37
	;; [unrolled: 1-line block ×3, first 2 shown]
	v_add_f32_e32 v47, v101, v98
	v_add_f32_e32 v1, v79, v1
	;; [unrolled: 1-line block ×5, first 2 shown]
	v_dual_add_f32 v48, v103, v100 :: v_dual_add_f32 v7, v8, v7
	v_dual_add_f32 v8, v12, v35 :: v_dual_add_f32 v13, v85, v13
	v_add_f32_e32 v36, v99, v93
	v_add_f32_e32 v38, v38, v102
	v_dual_add_f32 v14, v14, v108 :: v_dual_add_f32 v11, v11, v53
	v_add_f32_e32 v19, v63, v62
	v_add_f32_e32 v35, v65, v64
	;; [unrolled: 3-line block ×3, first 2 shown]
	v_add_f32_e32 v28, v95, v28
	v_add_f32_e32 v6, v7, v6
	;; [unrolled: 1-line block ×4, first 2 shown]
	v_dual_add_f32 v36, v40, v36 :: v_dual_add_f32 v15, v15, v11
	v_add_f32_e32 v40, v112, v49
	v_add_f32_e32 v12, v56, v55
	;; [unrolled: 1-line block ×3, first 2 shown]
	v_dual_add_f32 v16, v50, v37 :: v_dual_add_f32 v37, v115, v47
	v_dual_add_f32 v55, v72, v71 :: v_dual_add_f32 v54, v70, v69
	;; [unrolled: 1-line block ×4, first 2 shown]
	v_add_f32_e32 v10, v18, v10
	v_dual_add_f32 v18, v119, v37 :: v_dual_add_f32 v37, v105, v39
	v_add_f32_e32 v28, v96, v28
	v_add_f32_e32 v39, v113, v40
	;; [unrolled: 1-line block ×4, first 2 shown]
	v_dual_add_f32 v19, v66, v35 :: v_dual_add_f32 v14, v117, v14
	v_dual_add_f32 v35, v73, v55 :: v_dual_add_f32 v34, v83, v54
	v_add_f32_e32 v5, v89, v13
	v_add_f32_e32 v43, v84, v56
	s_delay_alu instid0(VALU_DEP_4) | instskip(SKIP_1) | instid1(VALU_DEP_3)
	v_dual_add_f32 v19, v67, v19 :: v_dual_add_f32 v14, v121, v14
	v_add_f32_e32 v48, v81, v1
	v_dual_add_f32 v6, v29, v10 :: v_dual_add_f32 v43, v88, v43
	v_add_f32_e32 v34, v87, v34
	s_delay_alu instid0(VALU_DEP_4)
	v_dual_add_f32 v40, v122, v9 :: v_dual_add_f32 v11, v125, v14
	v_add_f32_e32 v1, v97, v28
	v_add_f32_e32 v28, v41, v4
	v_dual_add_f32 v29, v33, v32 :: v_dual_add_f32 v38, v120, v38
	v_add_f32_e32 v47, v86, v12
	v_add_f32_e32 v16, v51, v16
	v_dual_add_f32 v14, v17, v15 :: v_dual_add_f32 v17, v91, v34
	v_add_f32_e32 v13, v126, v40
	s_delay_alu instid0(VALU_DEP_4) | instskip(SKIP_4) | instid1(VALU_DEP_3)
	v_add_f32_e32 v15, v90, v47
	v_dual_add_f32 v7, v123, v18 :: v_dual_add_f32 v18, v68, v19
	v_add_f32_e32 v19, v28, v3
	v_dual_add_f32 v32, v29, v31 :: v_dual_add_f32 v29, v82, v48
	v_dual_add_f32 v36, v42, v36 :: v_dual_add_f32 v9, v124, v38
	v_dual_add_f32 v42, v60, v8 :: v_dual_add_f32 v31, v19, v2
	v_dual_add_f32 v35, v74, v35 :: v_dual_add_f32 v44, v44, v0
	v_add_f32_e32 v10, v106, v37
	v_add_f32_e32 v12, v114, v39
	;; [unrolled: 1-line block ×9, first 2 shown]
	ds_store_2addr_b64 v27, v[11:12], v[9:10] offset0:26 offset1:39
	ds_store_2addr_b64 v27, v[7:8], v[5:6] offset0:52 offset1:65
	;; [unrolled: 1-line block ×4, first 2 shown]
	ds_store_2addr_b64 v27, v[30:31], v[13:14] offset1:13
	ds_store_b64 v27, v[28:29] offset:1040
.LBB0_19:
	s_or_b32 exec_lo, exec_lo, s1
	s_waitcnt lgkmcnt(0)
	s_barrier
	buffer_gl0_inv
	s_and_saveexec_b32 s0, vcc_lo
	s_cbranch_execz .LBB0_21
; %bb.20:
	v_mul_u32_u24_e32 v0, 9, v25
	v_mul_lo_u32 v18, s3, v22
	v_mul_lo_u32 v19, s2, v23
	v_lshlrev_b64 v[35:36], 3, v[20:21]
	s_delay_alu instid0(VALU_DEP_4)
	v_dual_mov_b32 v25, 0 :: v_dual_lshlrev_b32 v16, 3, v0
	s_clause 0x4
	global_load_b128 v[0:3], v16, s[8:9] offset:1040
	global_load_b128 v[4:7], v16, s[8:9] offset:1056
	;; [unrolled: 1-line block ×4, first 2 shown]
	global_load_b64 v[39:40], v16, s[8:9] offset:1104
	v_mad_u64_u32 v[16:17], null, s2, v22, 0
	v_add_nc_u32_e32 v22, 0x800, v26
	v_add_nc_u32_e32 v23, 0x1000, v26
	;; [unrolled: 1-line block ×4, first 2 shown]
	v_lshlrev_b64 v[24:25], 3, v[24:25]
	v_add3_u32 v17, v17, v19, v18
	s_delay_alu instid0(VALU_DEP_1)
	v_lshlrev_b64 v[37:38], 3, v[16:17]
	ds_load_2addr_b64 v[16:19], v22 offset0:30 offset1:173
	ds_load_2addr_b64 v[20:23], v23 offset0:60 offset1:203
	ds_load_2addr_b64 v[27:30], v27 offset0:56 offset1:199
	ds_load_2addr_b64 v[31:34], v31 offset0:90 offset1:233
	v_add_co_u32 v37, vcc_lo, s6, v37
	v_add_co_ci_u32_e32 v38, vcc_lo, s7, v38, vcc_lo
	s_delay_alu instid0(VALU_DEP_2) | instskip(NEXT) | instid1(VALU_DEP_2)
	v_add_co_u32 v35, vcc_lo, v37, v35
	v_add_co_ci_u32_e32 v36, vcc_lo, v38, v36, vcc_lo
	s_delay_alu instid0(VALU_DEP_2) | instskip(NEXT) | instid1(VALU_DEP_2)
	v_add_co_u32 v24, vcc_lo, v35, v24
	v_add_co_ci_u32_e32 v25, vcc_lo, v36, v25, vcc_lo
	ds_load_2addr_b64 v[35:38], v26 offset1:143
	v_add_co_u32 v41, vcc_lo, 0x1000, v24
	v_add_co_ci_u32_e32 v42, vcc_lo, 0, v25, vcc_lo
	v_add_co_u32 v43, vcc_lo, 0x2000, v24
	v_add_co_ci_u32_e32 v44, vcc_lo, 0, v25, vcc_lo
	s_waitcnt vmcnt(4) lgkmcnt(4)
	v_mul_f32_e32 v26, v3, v16
	s_waitcnt vmcnt(3)
	v_mul_f32_e32 v48, v5, v19
	s_waitcnt vmcnt(2) lgkmcnt(2)
	v_mul_f32_e32 v46, v11, v27
	s_waitcnt vmcnt(0) lgkmcnt(1)
	v_dual_mul_f32 v47, v15, v31 :: v_dual_mul_f32 v50, v40, v30
	v_mul_f32_e32 v45, v7, v20
	s_waitcnt lgkmcnt(0)
	v_dual_mul_f32 v3, v3, v17 :: v_dual_mul_f32 v52, v1, v38
	v_dual_mul_f32 v27, v10, v27 :: v_dual_mul_f32 v40, v29, v40
	v_dual_mul_f32 v7, v7, v21 :: v_dual_fmac_f32 v48, v4, v18
	v_dual_mul_f32 v31, v14, v31 :: v_dual_fmac_f32 v50, v39, v29
	v_fma_f32 v17, v2, v17, -v26
	v_fma_f32 v10, v10, v28, -v46
	v_dual_mul_f32 v49, v13, v23 :: v_dual_fmac_f32 v52, v0, v37
	v_mul_f32_e32 v5, v5, v18
	v_fma_f32 v14, v14, v32, -v47
	v_dual_fmac_f32 v7, v6, v20 :: v_dual_sub_f32 v26, v48, v50
	v_dual_fmac_f32 v31, v32, v15 :: v_dual_add_f32 v32, v17, v10
	v_mul_f32_e32 v51, v9, v34
	v_mul_f32_e32 v9, v33, v9
	v_fma_f32 v21, v6, v21, -v45
	v_fmac_f32_e32 v49, v12, v22
	v_fmac_f32_e32 v3, v2, v16
	v_fma_f32 v2, v4, v19, -v5
	v_mul_f32_e32 v13, v13, v22
	v_fma_f32 v4, v39, v30, -v40
	v_fma_f32 v6, v8, v34, -v9
	v_mul_f32_e32 v1, v1, v37
	v_dual_fmac_f32 v27, v28, v11 :: v_dual_sub_f32 v30, v14, v10
	v_fma_f32 v5, v12, v23, -v13
	v_dual_sub_f32 v12, v7, v31 :: v_dual_fmac_f32 v51, v8, v33
	v_sub_f32_e32 v22, v4, v6
	v_fma_f32 v0, v0, v38, -v1
	s_delay_alu instid0(VALU_DEP_4) | instskip(NEXT) | instid1(VALU_DEP_4)
	v_sub_f32_e32 v38, v5, v2
	v_dual_sub_f32 v1, v17, v21 :: v_dual_sub_f32 v34, v51, v50
	v_sub_f32_e32 v8, v10, v14
	v_add_f32_e32 v9, v21, v14
	v_sub_f32_e32 v15, v50, v51
	v_sub_f32_e32 v18, v2, v4
	v_dual_sub_f32 v20, v2, v5 :: v_dual_add_f32 v23, v5, v6
	v_sub_f32_e32 v56, v31, v27
	v_dual_add_f32 v40, v2, v4 :: v_dual_sub_f32 v13, v48, v49
	v_sub_f32_e32 v28, v49, v51
	v_add_f32_e32 v2, v2, v0
	v_add_f32_e32 v16, v49, v51
	v_dual_sub_f32 v11, v3, v27 :: v_dual_sub_f32 v54, v21, v14
	v_add_f32_e32 v37, v48, v50
	s_delay_alu instid0(VALU_DEP_4)
	v_dual_sub_f32 v55, v7, v3 :: v_dual_add_f32 v2, v5, v2
	v_sub_f32_e32 v29, v21, v17
	v_fma_f32 v58, -0.5, v9, v36
	v_sub_f32_e32 v33, v49, v48
	v_add_f32_e32 v48, v48, v52
	v_add_f32_e32 v1, v1, v8
	;; [unrolled: 1-line block ×3, first 2 shown]
	v_fma_f32 v15, -0.5, v23, v0
	v_dual_sub_f32 v19, v5, v6 :: v_dual_sub_f32 v46, v3, v7
	v_add_f32_e32 v45, v17, v36
	v_fma_f32 v9, -0.5, v16, v52
	v_add_f32_e32 v13, v20, v22
	v_fma_f32 v20, -0.5, v32, v36
	;; [unrolled: 2-line block ×3, first 2 shown]
	v_add_f32_e32 v32, v55, v56
	v_dual_sub_f32 v39, v6, v4 :: v_dual_add_f32 v16, v29, v30
	v_fma_f32 v30, -0.5, v40, v0
	v_dual_add_f32 v3, v3, v35 :: v_dual_fmamk_f32 v36, v26, 0xbf737871, v15
	v_dual_add_f32 v53, v7, v31 :: v_dual_add_f32 v0, v21, v45
	v_sub_f32_e32 v17, v17, v10
	v_dual_add_f32 v2, v6, v2 :: v_dual_sub_f32 v47, v27, v31
	v_add_f32_e32 v22, v33, v34
	s_delay_alu instid0(VALU_DEP_4)
	v_fma_f32 v21, -0.5, v53, v35
	v_dual_add_f32 v29, v38, v39 :: v_dual_fmamk_f32 v38, v19, 0xbf737871, v23
	v_fmamk_f32 v39, v28, 0x3f737871, v30
	v_dual_fmac_f32 v23, 0x3f737871, v19 :: v_dual_add_f32 v2, v4, v2
	v_dual_fmac_f32 v30, 0xbf737871, v28 :: v_dual_add_f32 v3, v7, v3
	v_add_f32_e32 v0, v14, v0
	s_delay_alu instid0(VALU_DEP_3) | instskip(NEXT) | instid1(VALU_DEP_3)
	v_dual_fmac_f32 v36, 0xbf167918, v28 :: v_dual_fmac_f32 v23, 0xbf167918, v18
	v_dual_fmac_f32 v30, 0x3f167918, v26 :: v_dual_add_f32 v3, v31, v3
	v_fmamk_f32 v37, v12, 0x3f737871, v20
	v_fmac_f32_e32 v20, 0xbf737871, v12
	v_fma_f32 v33, -0.5, v57, v35
	v_add_f32_e32 v7, v49, v48
	v_fmamk_f32 v40, v17, 0x3f737871, v21
	v_add_f32_e32 v4, v27, v3
	v_fmamk_f32 v34, v11, 0xbf737871, v58
	v_fmamk_f32 v14, v54, 0xbf737871, v33
	v_dual_fmamk_f32 v35, v18, 0x3f737871, v9 :: v_dual_add_f32 v6, v51, v7
	v_add_f32_e32 v7, v10, v0
	v_dual_fmac_f32 v23, 0x3e9e377a, v22 :: v_dual_fmac_f32 v30, 0x3e9e377a, v29
	v_dual_add_f32 v5, v46, v47 :: v_dual_fmac_f32 v34, 0xbf167918, v12
	s_delay_alu instid0(VALU_DEP_4) | instskip(NEXT) | instid1(VALU_DEP_3)
	v_dual_add_f32 v6, v50, v6 :: v_dual_fmac_f32 v21, 0xbf737871, v17
	v_mul_f32_e32 v27, 0xbf737871, v30
	v_fmac_f32_e32 v58, 0x3f737871, v11
	v_dual_fmac_f32 v14, 0x3f167918, v17 :: v_dual_add_f32 v3, v7, v2
	s_delay_alu instid0(VALU_DEP_3) | instskip(SKIP_1) | instid1(VALU_DEP_4)
	v_dual_sub_f32 v0, v4, v6 :: v_dual_fmac_f32 v27, 0x3e9e377a, v23
	v_fmac_f32_e32 v21, 0xbf167918, v54
	v_fmac_f32_e32 v58, 0x3f167918, v12
	s_delay_alu instid0(VALU_DEP_4) | instskip(SKIP_1) | instid1(VALU_DEP_4)
	v_fmac_f32_e32 v14, 0x3e9e377a, v32
	v_dual_fmac_f32 v35, 0x3f167918, v19 :: v_dual_fmac_f32 v38, 0x3f167918, v18
	v_fmac_f32_e32 v21, 0x3e9e377a, v5
	v_fmac_f32_e32 v33, 0x3f737871, v54
	;; [unrolled: 1-line block ×3, first 2 shown]
	s_delay_alu instid0(VALU_DEP_4) | instskip(SKIP_1) | instid1(VALU_DEP_4)
	v_dual_fmac_f32 v34, 0x3e9e377a, v1 :: v_dual_fmac_f32 v35, 0x3e9e377a, v8
	v_fmac_f32_e32 v58, 0x3e9e377a, v1
	v_fmac_f32_e32 v33, 0xbf167918, v17
	v_sub_f32_e32 v1, v7, v2
	v_add_f32_e32 v2, v4, v6
	v_dual_fmac_f32 v36, 0x3e9e377a, v13 :: v_dual_fmac_f32 v37, 0x3e9e377a, v16
	v_mul_f32_e32 v17, 0x3e9e377a, v30
	v_fmac_f32_e32 v39, 0xbf167918, v26
	v_fmac_f32_e32 v38, 0x3e9e377a, v22
	s_delay_alu instid0(VALU_DEP_4)
	v_mul_f32_e32 v22, 0xbf167918, v36
	v_fmac_f32_e32 v33, 0x3e9e377a, v32
	v_fmac_f32_e32 v17, 0x3f737871, v23
	v_mul_f32_e32 v12, 0xbf4f1bbd, v36
	v_fmac_f32_e32 v39, 0x3e9e377a, v29
	v_fmac_f32_e32 v9, 0xbf737871, v18
	;; [unrolled: 1-line block ×3, first 2 shown]
	s_delay_alu instid0(VALU_DEP_4) | instskip(SKIP_2) | instid1(VALU_DEP_2)
	v_fmac_f32_e32 v12, 0x3f167918, v35
	v_fmac_f32_e32 v40, 0x3f167918, v54
	v_mul_f32_e32 v26, 0xbf737871, v39
	v_fmac_f32_e32 v40, 0x3e9e377a, v5
	s_delay_alu instid0(VALU_DEP_2) | instskip(NEXT) | instid1(VALU_DEP_1)
	v_fmac_f32_e32 v26, 0xbe9e377a, v38
	v_sub_f32_e32 v6, v14, v26
	v_add_f32_e32 v14, v14, v26
	v_fmac_f32_e32 v22, 0xbf4f1bbd, v35
	s_delay_alu instid0(VALU_DEP_1) | instskip(NEXT) | instid1(VALU_DEP_1)
	v_dual_fmac_f32 v9, 0xbf167918, v19 :: v_dual_sub_f32 v4, v40, v22
	v_dual_fmac_f32 v9, 0x3e9e377a, v8 :: v_dual_sub_f32 v8, v33, v27
	v_dual_fmac_f32 v20, 0x3f167918, v11 :: v_dual_fmac_f32 v15, 0x3f167918, v28
	s_delay_alu instid0(VALU_DEP_1) | instskip(NEXT) | instid1(VALU_DEP_1)
	v_dual_fmac_f32 v20, 0x3e9e377a, v16 :: v_dual_fmac_f32 v15, 0x3e9e377a, v13
	v_mul_f32_e32 v18, 0x3f4f1bbd, v15
	v_mul_f32_e32 v28, 0xbf167918, v15
	s_delay_alu instid0(VALU_DEP_2) | instskip(SKIP_1) | instid1(VALU_DEP_3)
	v_fmac_f32_e32 v18, 0x3f167918, v9
	v_mul_f32_e32 v16, 0xbe9e377a, v39
	v_fmac_f32_e32 v28, 0x3f4f1bbd, v9
	v_sub_f32_e32 v9, v20, v17
	v_add_f32_e32 v17, v20, v17
	v_add_f32_e32 v19, v58, v18
	v_sub_f32_e32 v11, v58, v18
	v_fmac_f32_e32 v16, 0x3f737871, v38
	v_add_f32_e32 v18, v21, v28
	v_sub_f32_e32 v10, v21, v28
	s_delay_alu instid0(VALU_DEP_3)
	v_add_f32_e32 v15, v37, v16
	v_add_f32_e32 v13, v34, v12
	v_sub_f32_e32 v5, v34, v12
	v_dual_sub_f32 v7, v37, v16 :: v_dual_add_f32 v12, v40, v22
	v_add_f32_e32 v16, v33, v27
	s_clause 0x9
	global_store_b64 v[24:25], v[2:3], off
	global_store_b64 v[24:25], v[18:19], off offset:1144
	global_store_b64 v[24:25], v[16:17], off offset:2288
	;; [unrolled: 1-line block ×9, first 2 shown]
.LBB0_21:
	s_nop 0
	s_sendmsg sendmsg(MSG_DEALLOC_VGPRS)
	s_endpgm
	.section	.rodata,"a",@progbits
	.p2align	6, 0x0
	.amdhsa_kernel fft_rtc_back_len1430_factors_13_11_10_wgs_143_tpt_143_sp_op_CI_CI_unitstride_sbrr_dirReg
		.amdhsa_group_segment_fixed_size 0
		.amdhsa_private_segment_fixed_size 0
		.amdhsa_kernarg_size 104
		.amdhsa_user_sgpr_count 15
		.amdhsa_user_sgpr_dispatch_ptr 0
		.amdhsa_user_sgpr_queue_ptr 0
		.amdhsa_user_sgpr_kernarg_segment_ptr 1
		.amdhsa_user_sgpr_dispatch_id 0
		.amdhsa_user_sgpr_private_segment_size 0
		.amdhsa_wavefront_size32 1
		.amdhsa_uses_dynamic_stack 0
		.amdhsa_enable_private_segment 0
		.amdhsa_system_sgpr_workgroup_id_x 1
		.amdhsa_system_sgpr_workgroup_id_y 0
		.amdhsa_system_sgpr_workgroup_id_z 0
		.amdhsa_system_sgpr_workgroup_info 0
		.amdhsa_system_vgpr_workitem_id 0
		.amdhsa_next_free_vgpr 127
		.amdhsa_next_free_sgpr 27
		.amdhsa_reserve_vcc 1
		.amdhsa_float_round_mode_32 0
		.amdhsa_float_round_mode_16_64 0
		.amdhsa_float_denorm_mode_32 3
		.amdhsa_float_denorm_mode_16_64 3
		.amdhsa_dx10_clamp 1
		.amdhsa_ieee_mode 1
		.amdhsa_fp16_overflow 0
		.amdhsa_workgroup_processor_mode 1
		.amdhsa_memory_ordered 1
		.amdhsa_forward_progress 0
		.amdhsa_shared_vgpr_count 0
		.amdhsa_exception_fp_ieee_invalid_op 0
		.amdhsa_exception_fp_denorm_src 0
		.amdhsa_exception_fp_ieee_div_zero 0
		.amdhsa_exception_fp_ieee_overflow 0
		.amdhsa_exception_fp_ieee_underflow 0
		.amdhsa_exception_fp_ieee_inexact 0
		.amdhsa_exception_int_div_zero 0
	.end_amdhsa_kernel
	.text
.Lfunc_end0:
	.size	fft_rtc_back_len1430_factors_13_11_10_wgs_143_tpt_143_sp_op_CI_CI_unitstride_sbrr_dirReg, .Lfunc_end0-fft_rtc_back_len1430_factors_13_11_10_wgs_143_tpt_143_sp_op_CI_CI_unitstride_sbrr_dirReg
                                        ; -- End function
	.section	.AMDGPU.csdata,"",@progbits
; Kernel info:
; codeLenInByte = 8820
; NumSgprs: 29
; NumVgprs: 127
; ScratchSize: 0
; MemoryBound: 0
; FloatMode: 240
; IeeeMode: 1
; LDSByteSize: 0 bytes/workgroup (compile time only)
; SGPRBlocks: 3
; VGPRBlocks: 15
; NumSGPRsForWavesPerEU: 29
; NumVGPRsForWavesPerEU: 127
; Occupancy: 10
; WaveLimiterHint : 1
; COMPUTE_PGM_RSRC2:SCRATCH_EN: 0
; COMPUTE_PGM_RSRC2:USER_SGPR: 15
; COMPUTE_PGM_RSRC2:TRAP_HANDLER: 0
; COMPUTE_PGM_RSRC2:TGID_X_EN: 1
; COMPUTE_PGM_RSRC2:TGID_Y_EN: 0
; COMPUTE_PGM_RSRC2:TGID_Z_EN: 0
; COMPUTE_PGM_RSRC2:TIDIG_COMP_CNT: 0
	.text
	.p2alignl 7, 3214868480
	.fill 96, 4, 3214868480
	.type	__hip_cuid_4cf6fc00b9f05328,@object ; @__hip_cuid_4cf6fc00b9f05328
	.section	.bss,"aw",@nobits
	.globl	__hip_cuid_4cf6fc00b9f05328
__hip_cuid_4cf6fc00b9f05328:
	.byte	0                               ; 0x0
	.size	__hip_cuid_4cf6fc00b9f05328, 1

	.ident	"AMD clang version 19.0.0git (https://github.com/RadeonOpenCompute/llvm-project roc-6.4.0 25133 c7fe45cf4b819c5991fe208aaa96edf142730f1d)"
	.section	".note.GNU-stack","",@progbits
	.addrsig
	.addrsig_sym __hip_cuid_4cf6fc00b9f05328
	.amdgpu_metadata
---
amdhsa.kernels:
  - .args:
      - .actual_access:  read_only
        .address_space:  global
        .offset:         0
        .size:           8
        .value_kind:     global_buffer
      - .offset:         8
        .size:           8
        .value_kind:     by_value
      - .actual_access:  read_only
        .address_space:  global
        .offset:         16
        .size:           8
        .value_kind:     global_buffer
      - .actual_access:  read_only
        .address_space:  global
        .offset:         24
        .size:           8
        .value_kind:     global_buffer
      - .actual_access:  read_only
        .address_space:  global
        .offset:         32
        .size:           8
        .value_kind:     global_buffer
      - .offset:         40
        .size:           8
        .value_kind:     by_value
      - .actual_access:  read_only
        .address_space:  global
        .offset:         48
        .size:           8
        .value_kind:     global_buffer
      - .actual_access:  read_only
        .address_space:  global
        .offset:         56
        .size:           8
        .value_kind:     global_buffer
      - .offset:         64
        .size:           4
        .value_kind:     by_value
      - .actual_access:  read_only
        .address_space:  global
        .offset:         72
        .size:           8
        .value_kind:     global_buffer
      - .actual_access:  read_only
        .address_space:  global
        .offset:         80
        .size:           8
        .value_kind:     global_buffer
      - .actual_access:  read_only
        .address_space:  global
        .offset:         88
        .size:           8
        .value_kind:     global_buffer
      - .actual_access:  write_only
        .address_space:  global
        .offset:         96
        .size:           8
        .value_kind:     global_buffer
    .group_segment_fixed_size: 0
    .kernarg_segment_align: 8
    .kernarg_segment_size: 104
    .language:       OpenCL C
    .language_version:
      - 2
      - 0
    .max_flat_workgroup_size: 143
    .name:           fft_rtc_back_len1430_factors_13_11_10_wgs_143_tpt_143_sp_op_CI_CI_unitstride_sbrr_dirReg
    .private_segment_fixed_size: 0
    .sgpr_count:     29
    .sgpr_spill_count: 0
    .symbol:         fft_rtc_back_len1430_factors_13_11_10_wgs_143_tpt_143_sp_op_CI_CI_unitstride_sbrr_dirReg.kd
    .uniform_work_group_size: 1
    .uses_dynamic_stack: false
    .vgpr_count:     127
    .vgpr_spill_count: 0
    .wavefront_size: 32
    .workgroup_processor_mode: 1
amdhsa.target:   amdgcn-amd-amdhsa--gfx1100
amdhsa.version:
  - 1
  - 2
...

	.end_amdgpu_metadata
